;; amdgpu-corpus repo=ROCm/rocFFT kind=compiled arch=gfx906 opt=O3
	.text
	.amdgcn_target "amdgcn-amd-amdhsa--gfx906"
	.amdhsa_code_object_version 6
	.protected	bluestein_single_fwd_len5488_dim1_half_op_CI_CI ; -- Begin function bluestein_single_fwd_len5488_dim1_half_op_CI_CI
	.globl	bluestein_single_fwd_len5488_dim1_half_op_CI_CI
	.p2align	8
	.type	bluestein_single_fwd_len5488_dim1_half_op_CI_CI,@function
bluestein_single_fwd_len5488_dim1_half_op_CI_CI: ; @bluestein_single_fwd_len5488_dim1_half_op_CI_CI
; %bb.0:
	s_load_dwordx4 s[16:19], s[4:5], 0x28
	v_mul_u32_u24_e32 v1, 0x14f, v0
	v_add_u32_sdwa v71, s6, v1 dst_sel:DWORD dst_unused:UNUSED_PAD src0_sel:DWORD src1_sel:WORD_1
	v_mov_b32_e32 v72, 0
	s_waitcnt lgkmcnt(0)
	v_cmp_gt_u64_e32 vcc, s[16:17], v[71:72]
	s_and_saveexec_b64 s[0:1], vcc
	s_cbranch_execz .LBB0_2
; %bb.1:
	s_load_dwordx4 s[8:11], s[4:5], 0x18
	s_load_dwordx4 s[0:3], s[4:5], 0x0
	s_movk_i32 s16, 0xc4
	v_mul_lo_u16_sdwa v1, v1, s16 dst_sel:DWORD dst_unused:UNUSED_PAD src0_sel:WORD_1 src1_sel:DWORD
	v_sub_u16_e32 v124, v0, v1
	s_waitcnt lgkmcnt(0)
	s_load_dwordx4 s[12:15], s[8:9], 0x0
	v_lshlrev_b32_e32 v126, 2, v124
	global_load_dword v125, v126, s[0:1]
	global_load_dword v123, v126, s[0:1] offset:3136
	s_movk_i32 s8, 0x1000
	s_waitcnt lgkmcnt(0)
	v_mad_u64_u32 v[0:1], s[6:7], s14, v71, 0
	v_mad_u64_u32 v[2:3], s[6:7], s12, v124, 0
	v_add_u32_e32 v132, 0xf00, v126
	v_add_u32_e32 v134, 0x1b00, v126
	v_mad_u64_u32 v[4:5], s[6:7], s15, v71, v[1:2]
	v_add_u32_e32 v135, 0x2700, v126
	v_add_u32_e32 v136, 0x3400, v126
	v_mad_u64_u32 v[5:6], s[6:7], s13, v124, v[3:4]
	v_mov_b32_e32 v1, v4
	v_lshlrev_b64 v[0:1], 2, v[0:1]
	v_mov_b32_e32 v6, s19
	v_mov_b32_e32 v3, v5
	v_add_co_u32_e32 v4, vcc, s18, v0
	v_addc_co_u32_e32 v5, vcc, v6, v1, vcc
	v_lshlrev_b64 v[0:1], 2, v[2:3]
	v_mov_b32_e32 v2, s1
	v_add_co_u32_e32 v0, vcc, v4, v0
	v_addc_co_u32_e32 v1, vcc, v5, v1, vcc
	v_add_co_u32_e32 v139, vcc, s0, v126
	s_mul_i32 s6, s13, 0xc40
	s_mul_hi_u32 s7, s12, 0xc40
	v_addc_co_u32_e32 v140, vcc, 0, v2, vcc
	s_add_i32 s6, s7, s6
	s_mul_i32 s7, s12, 0xc40
	global_load_dword v8, v[0:1], off
	v_mov_b32_e32 v2, s6
	v_add_co_u32_e32 v0, vcc, s7, v0
	v_addc_co_u32_e32 v1, vcc, v1, v2, vcc
	v_mov_b32_e32 v3, s6
	v_add_co_u32_e32 v2, vcc, s7, v0
	v_addc_co_u32_e32 v3, vcc, v1, v3, vcc
	global_load_dword v9, v[0:1], off
	global_load_dword v10, v[2:3], off
	v_add_co_u32_e32 v0, vcc, s8, v139
	v_addc_co_u32_e32 v1, vcc, 0, v140, vcc
	global_load_dword v121, v[0:1], off offset:2176
	v_mov_b32_e32 v4, s6
	v_add_co_u32_e32 v2, vcc, s7, v2
	v_addc_co_u32_e32 v3, vcc, v3, v4, vcc
	s_movk_i32 s8, 0x2000
	v_add_co_u32_e32 v4, vcc, s8, v139
	global_load_dword v11, v[2:3], off
	v_addc_co_u32_e32 v5, vcc, 0, v140, vcc
	global_load_dword v119, v[4:5], off offset:1216
	v_mov_b32_e32 v6, s6
	v_add_co_u32_e32 v2, vcc, s7, v2
	v_addc_co_u32_e32 v3, vcc, v3, v6, vcc
	s_movk_i32 s8, 0x3000
	v_add_co_u32_e32 v6, vcc, s8, v139
	v_addc_co_u32_e32 v7, vcc, 0, v140, vcc
	global_load_dword v118, v[6:7], off offset:256
	global_load_dword v12, v[2:3], off
	s_load_dwordx4 s[8:11], s[10:11], 0x0
	global_load_dword v114, v126, s[0:1] offset:3920
	global_load_dword v117, v126, s[0:1] offset:784
	;; [unrolled: 1-line block ×4, first 2 shown]
	global_load_dword v103, v[0:1], off offset:608
	global_load_dword v116, v[0:1], off offset:2960
	;; [unrolled: 1-line block ×4, first 2 shown]
	s_movk_i32 s0, 0x4000
	s_mul_hi_u32 s1, s12, 0xffffb990
	s_sub_i32 s1, s1, s12
	v_mov_b32_e32 v16, s6
	v_add_u32_e32 v137, 0x4000, v126
	v_add_u32_e32 v138, 0x4c00, v126
	;; [unrolled: 1-line block ×9, first 2 shown]
	s_movk_i32 s15, 0x3b00
	s_movk_i32 s14, 0x370e
	v_add_u32_e32 v111, 0x1200, v126
	v_add_u32_e32 v109, 0x1e00, v126
	;; [unrolled: 1-line block ×6, first 2 shown]
	s_movk_i32 s17, 0x2493
	s_load_dwordx2 s[4:5], s[4:5], 0x38
	s_waitcnt vmcnt(15)
	v_lshrrev_b32_e32 v0, 16, v8
	v_mul_f16_sdwa v1, v125, v8 dst_sel:DWORD dst_unused:UNUSED_PAD src0_sel:WORD_1 src1_sel:DWORD
	v_mul_f16_sdwa v13, v125, v0 dst_sel:DWORD dst_unused:UNUSED_PAD src0_sel:WORD_1 src1_sel:DWORD
	v_fma_f16 v0, v125, v0, -v1
	v_fma_f16 v8, v125, v8, v13
	v_pack_b32_f16 v8, v8, v0
	s_waitcnt vmcnt(14)
	v_lshrrev_b32_e32 v1, 16, v9
	v_mul_f16_sdwa v14, v123, v9 dst_sel:DWORD dst_unused:UNUSED_PAD src0_sel:WORD_1 src1_sel:DWORD
	v_mul_f16_sdwa v13, v123, v1 dst_sel:DWORD dst_unused:UNUSED_PAD src0_sel:WORD_1 src1_sel:DWORD
	v_fma_f16 v1, v123, v1, -v14
	s_waitcnt vmcnt(13)
	v_lshrrev_b32_e32 v14, 16, v10
	v_fma_f16 v0, v123, v9, v13
	s_waitcnt vmcnt(12)
	v_mul_f16_sdwa v15, v121, v10 dst_sel:DWORD dst_unused:UNUSED_PAD src0_sel:WORD_1 src1_sel:DWORD
	v_mul_f16_sdwa v9, v121, v14 dst_sel:DWORD dst_unused:UNUSED_PAD src0_sel:WORD_1 src1_sel:DWORD
	v_pack_b32_f16 v0, v0, v1
	v_fma_f16 v1, v121, v10, v9
	ds_write_b32 v126, v0 offset:3136
	v_fma_f16 v0, v121, v14, -v15
	v_pack_b32_f16 v0, v1, v0
	ds_write_b32 v126, v0 offset:6272
	global_load_dword v115, v[4:5], off offset:2000
	global_load_dword v100, v[4:5], off offset:2784
	;; [unrolled: 1-line block ×4, first 2 shown]
	s_waitcnt vmcnt(15)
	v_lshrrev_b32_e32 v0, 16, v11
	v_mov_b32_e32 v10, s6
	v_mov_b32_e32 v13, s6
	s_waitcnt vmcnt(14)
	v_mul_f16_sdwa v1, v119, v0 dst_sel:DWORD dst_unused:UNUSED_PAD src0_sel:WORD_1 src1_sel:DWORD
	v_mul_f16_sdwa v4, v119, v11 dst_sel:DWORD dst_unused:UNUSED_PAD src0_sel:WORD_1 src1_sel:DWORD
	v_fma_f16 v1, v119, v11, v1
	v_fma_f16 v0, v119, v0, -v4
	v_pack_b32_f16 v0, v1, v0
	ds_write_b32 v126, v0 offset:9408
	v_mov_b32_e32 v1, s6
	v_add_co_u32_e32 v0, vcc, s7, v2
	v_addc_co_u32_e32 v1, vcc, v3, v1, vcc
	global_load_dword v5, v[0:1], off
	global_load_dword v122, v[6:7], off offset:3392
	v_mov_b32_e32 v2, s6
	v_add_co_u32_e32 v0, vcc, s7, v0
	v_addc_co_u32_e32 v1, vcc, v1, v2, vcc
	global_load_dword v9, v[0:1], off
	v_add_co_u32_e32 v2, vcc, s0, v139
	v_addc_co_u32_e32 v3, vcc, 0, v140, vcc
	global_load_dword v120, v[2:3], off offset:2432
	global_load_dword v112, v[6:7], off offset:1040
	;; [unrolled: 1-line block ×4, first 2 shown]
	s_mul_i32 s0, s13, 0xffffb990
	s_add_i32 s0, s1, s0
	s_mul_i32 s1, s12, 0xffffb990
	v_mov_b32_e32 v7, s0
	v_add_co_u32_e32 v0, vcc, s1, v0
	v_addc_co_u32_e32 v1, vcc, v1, v7, vcc
	global_load_dword v7, v[0:1], off
	v_add_co_u32_e32 v0, vcc, s7, v0
	v_addc_co_u32_e32 v1, vcc, v1, v10, vcc
	global_load_dword v10, v[0:1], off
	v_mov_b32_e32 v11, s6
	v_add_co_u32_e32 v0, vcc, s7, v0
	v_addc_co_u32_e32 v1, vcc, v1, v11, vcc
	global_load_dword v11, v[0:1], off
	v_add_co_u32_e32 v0, vcc, s7, v0
	v_addc_co_u32_e32 v1, vcc, v1, v13, vcc
	global_load_dword v13, v[0:1], off
	v_mov_b32_e32 v14, s6
	v_add_co_u32_e32 v0, vcc, s7, v0
	v_addc_co_u32_e32 v1, vcc, v1, v14, vcc
	global_load_dword v14, v[0:1], off
	v_mov_b32_e32 v15, s6
	v_add_co_u32_e32 v0, vcc, s7, v0
	v_addc_co_u32_e32 v1, vcc, v1, v15, vcc
	s_waitcnt vmcnt(24)
	v_lshrrev_b32_e32 v4, 16, v12
	global_load_dword v15, v[0:1], off
	global_load_dword v110, v[2:3], off offset:80
	v_mul_f16_sdwa v6, v118, v4 dst_sel:DWORD dst_unused:UNUSED_PAD src0_sel:WORD_1 src1_sel:DWORD
	v_add_co_u32_e32 v0, vcc, s7, v0
	v_fma_f16 v6, v118, v12, v6
	v_addc_co_u32_e32 v1, vcc, v1, v16, vcc
	v_mul_f16_sdwa v12, v118, v12 dst_sel:DWORD dst_unused:UNUSED_PAD src0_sel:WORD_1 src1_sel:DWORD
	global_load_dword v16, v[0:1], off
	global_load_dword v108, v[2:3], off offset:3216
	v_fma_f16 v4, v118, v4, -v12
	v_mov_b32_e32 v12, s0
	v_add_co_u32_e32 v0, vcc, s1, v0
	v_addc_co_u32_e32 v1, vcc, v1, v12, vcc
	global_load_dword v17, v[0:1], off
	v_mov_b32_e32 v12, s6
	v_add_co_u32_e32 v0, vcc, s7, v0
	v_pack_b32_f16 v4, v6, v4
	v_addc_co_u32_e32 v1, vcc, v1, v12, vcc
	ds_write_b32 v126, v4 offset:12544
	global_load_dword v18, v[0:1], off
	v_add_co_u32_e32 v0, vcc, s7, v0
	s_movk_i32 s12, 0x188
	s_mov_b32 s13, 0xb574
	s_waitcnt vmcnt(17)
	v_lshrrev_b32_e32 v4, 16, v5
	s_waitcnt vmcnt(16)
	v_mul_f16_sdwa v6, v122, v4 dst_sel:DWORD dst_unused:UNUSED_PAD src0_sel:WORD_1 src1_sel:DWORD
	v_fma_f16 v6, v122, v5, v6
	v_mul_f16_sdwa v5, v122, v5 dst_sel:DWORD dst_unused:UNUSED_PAD src0_sel:WORD_1 src1_sel:DWORD
	v_fma_f16 v4, v122, v4, -v5
	v_pack_b32_f16 v4, v6, v4
	ds_write_b32 v126, v4 offset:15680
	s_waitcnt vmcnt(15)
	v_lshrrev_b32_e32 v4, 16, v9
	global_load_dword v98, v[2:3], off offset:864
	global_load_dword v97, v[2:3], off offset:4000
	;; [unrolled: 1-line block ×3, first 2 shown]
	s_waitcnt vmcnt(17)
	v_mul_f16_sdwa v2, v120, v4 dst_sel:DWORD dst_unused:UNUSED_PAD src0_sel:WORD_1 src1_sel:DWORD
	v_mul_f16_sdwa v3, v120, v9 dst_sel:DWORD dst_unused:UNUSED_PAD src0_sel:WORD_1 src1_sel:DWORD
	v_fma_f16 v2, v120, v9, v2
	v_fma_f16 v3, v120, v4, -v3
	v_pack_b32_f16 v2, v2, v3
	ds_write_b32 v126, v2 offset:18816
	v_mov_b32_e32 v2, s6
	v_addc_co_u32_e32 v1, vcc, v1, v2, vcc
	global_load_dword v2, v[0:1], off
	v_add_co_u32_e32 v12, vcc, s16, v124
	s_waitcnt vmcnt(14)
	v_lshrrev_b32_e32 v3, 16, v7
	v_mul_f16_sdwa v4, v117, v3 dst_sel:DWORD dst_unused:UNUSED_PAD src0_sel:WORD_1 src1_sel:DWORD
	v_mul_f16_sdwa v5, v117, v7 dst_sel:DWORD dst_unused:UNUSED_PAD src0_sel:WORD_1 src1_sel:DWORD
	v_fma_f16 v4, v117, v7, v4
	v_fma_f16 v3, v117, v3, -v5
	v_pack_b32_f16 v3, v4, v3
	ds_write2_b32 v126, v8, v3 offset1:196
	s_waitcnt vmcnt(13)
	v_lshrrev_b32_e32 v3, 16, v10
	v_mul_f16_sdwa v4, v114, v3 dst_sel:DWORD dst_unused:UNUSED_PAD src0_sel:WORD_1 src1_sel:DWORD
	v_mul_f16_sdwa v5, v114, v10 dst_sel:DWORD dst_unused:UNUSED_PAD src0_sel:WORD_1 src1_sel:DWORD
	v_fma_f16 v4, v114, v10, v4
	v_fma_f16 v3, v114, v3, -v5
	v_pack_b32_f16 v3, v4, v3
	s_waitcnt vmcnt(12)
	v_lshrrev_b32_e32 v4, 16, v11
	v_mul_f16_sdwa v5, v116, v4 dst_sel:DWORD dst_unused:UNUSED_PAD src0_sel:WORD_1 src1_sel:DWORD
	v_mul_f16_sdwa v6, v116, v11 dst_sel:DWORD dst_unused:UNUSED_PAD src0_sel:WORD_1 src1_sel:DWORD
	v_fma_f16 v5, v116, v11, v5
	v_fma_f16 v4, v116, v4, -v6
	v_pack_b32_f16 v4, v5, v4
	;; [unrolled: 7-line block ×4, first 2 shown]
	s_waitcnt vmcnt(9)
	v_lshrrev_b32_e32 v7, 16, v15
	s_waitcnt vmcnt(8)
	v_mul_f16_sdwa v8, v110, v7 dst_sel:DWORD dst_unused:UNUSED_PAD src0_sel:WORD_1 src1_sel:DWORD
	v_mul_f16_sdwa v9, v110, v15 dst_sel:DWORD dst_unused:UNUSED_PAD src0_sel:WORD_1 src1_sel:DWORD
	v_fma_f16 v8, v110, v15, v8
	v_fma_f16 v7, v110, v7, -v9
	v_pack_b32_f16 v7, v8, v7
	s_waitcnt vmcnt(7)
	v_lshrrev_b32_e32 v8, 16, v16
	s_waitcnt vmcnt(6)
	v_mul_f16_sdwa v9, v108, v8 dst_sel:DWORD dst_unused:UNUSED_PAD src0_sel:WORD_1 src1_sel:DWORD
	v_mul_f16_sdwa v10, v108, v16 dst_sel:DWORD dst_unused:UNUSED_PAD src0_sel:WORD_1 src1_sel:DWORD
	v_add_co_u32_e32 v25, vcc, s12, v124
	v_fma_f16 v9, v108, v16, v9
	v_fma_f16 v8, v108, v8, -v10
	v_mov_b32_e32 v13, s6
	v_add_co_u32_e32 v0, vcc, s7, v0
	v_pack_b32_f16 v8, v9, v8
	s_waitcnt vmcnt(5)
	v_lshrrev_b32_e32 v9, 16, v17
	v_addc_co_u32_e32 v1, vcc, v1, v13, vcc
	v_mul_f16_sdwa v10, v104, v9 dst_sel:DWORD dst_unused:UNUSED_PAD src0_sel:WORD_1 src1_sel:DWORD
	v_mul_f16_sdwa v11, v104, v17 dst_sel:DWORD dst_unused:UNUSED_PAD src0_sel:WORD_1 src1_sel:DWORD
	global_load_dword v13, v[0:1], off
	v_fma_f16 v10, v104, v17, v10
	v_fma_f16 v9, v104, v9, -v11
	v_pack_b32_f16 v9, v10, v9
	s_waitcnt vmcnt(5)
	v_lshrrev_b32_e32 v10, 16, v18
	v_mul_f16_sdwa v14, v103, v18 dst_sel:DWORD dst_unused:UNUSED_PAD src0_sel:WORD_1 src1_sel:DWORD
	v_mul_f16_sdwa v11, v103, v10 dst_sel:DWORD dst_unused:UNUSED_PAD src0_sel:WORD_1 src1_sel:DWORD
	v_fma_f16 v10, v103, v10, -v14
	v_mov_b32_e32 v14, s6
	v_add_co_u32_e32 v0, vcc, s7, v0
	v_addc_co_u32_e32 v1, vcc, v1, v14, vcc
	global_load_dword v14, v[0:1], off
	v_fma_f16 v11, v103, v18, v11
	v_pack_b32_f16 v10, v11, v10
	v_mov_b32_e32 v11, s6
	v_add_co_u32_e32 v0, vcc, s7, v0
	v_addc_co_u32_e32 v1, vcc, v1, v11, vcc
	global_load_dword v11, v[0:1], off
	ds_write2_b32 v132, v3, v10 offset0:20 offset1:216
	v_mov_b32_e32 v10, s6
	v_add_co_u32_e32 v0, vcc, s7, v0
	s_waitcnt vmcnt(3)
	v_lshrrev_b32_e32 v3, 16, v2
	v_addc_co_u32_e32 v1, vcc, v1, v10, vcc
	global_load_dword v10, v[0:1], off
	v_mul_f16_sdwa v15, v101, v3 dst_sel:DWORD dst_unused:UNUSED_PAD src0_sel:WORD_1 src1_sel:DWORD
	v_fma_f16 v15, v101, v2, v15
	v_mul_f16_sdwa v2, v101, v2 dst_sel:DWORD dst_unused:UNUSED_PAD src0_sel:WORD_1 src1_sel:DWORD
	v_fma_f16 v2, v101, v3, -v2
	v_mov_b32_e32 v3, s0
	v_add_co_u32_e32 v0, vcc, s1, v0
	v_addc_co_u32_e32 v1, vcc, v1, v3, vcc
	global_load_dword v3, v[0:1], off
	v_pack_b32_f16 v2, v15, v2
	ds_write2_b32 v134, v4, v2 offset0:36 offset1:232
	v_mov_b32_e32 v2, s6
	v_add_co_u32_e32 v0, vcc, s7, v0
	v_addc_co_u32_e32 v1, vcc, v1, v2, vcc
	global_load_dword v2, v[0:1], off
	v_mov_b32_e32 v4, s6
	v_add_co_u32_e32 v0, vcc, s7, v0
	v_addc_co_u32_e32 v1, vcc, v1, v4, vcc
	global_load_dword v4, v[0:1], off
	;; [unrolled: 4-line block ×5, first 2 shown]
	v_mov_b32_e32 v18, s6
	v_add_co_u32_e32 v0, vcc, s7, v0
	v_addc_co_u32_e32 v1, vcc, v1, v18, vcc
	s_movk_i32 s0, 0x5000
	v_add_co_u32_e32 v84, vcc, s0, v139
	global_load_dword v0, v[0:1], off
	v_addc_co_u32_e32 v85, vcc, 0, v140, vcc
	global_load_dword v92, v[84:85], off offset:688
	s_waitcnt vmcnt(11)
	v_lshrrev_b32_e32 v1, 16, v13
	v_mul_f16_sdwa v18, v100, v1 dst_sel:DWORD dst_unused:UNUSED_PAD src0_sel:WORD_1 src1_sel:DWORD
	v_fma_f16 v18, v100, v13, v18
	v_mul_f16_sdwa v13, v100, v13 dst_sel:DWORD dst_unused:UNUSED_PAD src0_sel:WORD_1 src1_sel:DWORD
	v_fma_f16 v1, v100, v1, -v13
	v_pack_b32_f16 v1, v18, v1
	ds_write2_b32 v135, v5, v1 offset0:52 offset1:248
	s_movk_i32 s0, 0x24c
	v_add_co_u32_e32 v26, vcc, s0, v124
	s_waitcnt vmcnt(10)
	v_lshrrev_b32_e32 v1, 16, v14
	v_mul_f16_sdwa v5, v99, v1 dst_sel:DWORD dst_unused:UNUSED_PAD src0_sel:WORD_1 src1_sel:DWORD
	v_mul_f16_sdwa v13, v99, v14 dst_sel:DWORD dst_unused:UNUSED_PAD src0_sel:WORD_1 src1_sel:DWORD
	v_fma_f16 v5, v99, v14, v5
	v_fma_f16 v1, v99, v1, -v13
	v_pack_b32_f16 v1, v5, v1
	ds_write2_b32 v136, v6, v1 offset0:4 offset1:200
	s_waitcnt vmcnt(9)
	v_lshrrev_b32_e32 v1, 16, v11
	v_mul_f16_sdwa v5, v98, v1 dst_sel:DWORD dst_unused:UNUSED_PAD src0_sel:WORD_1 src1_sel:DWORD
	v_mul_f16_sdwa v6, v98, v11 dst_sel:DWORD dst_unused:UNUSED_PAD src0_sel:WORD_1 src1_sel:DWORD
	v_fma_f16 v5, v98, v11, v5
	v_fma_f16 v1, v98, v1, -v6
	v_pack_b32_f16 v1, v5, v1
	ds_write2_b32 v137, v7, v1 offset0:20 offset1:216
	s_movk_i32 s0, 0x2b26
	s_waitcnt vmcnt(8)
	v_lshrrev_b32_e32 v1, 16, v10
	v_mul_f16_sdwa v5, v97, v1 dst_sel:DWORD dst_unused:UNUSED_PAD src0_sel:WORD_1 src1_sel:DWORD
	v_mul_f16_sdwa v6, v97, v10 dst_sel:DWORD dst_unused:UNUSED_PAD src0_sel:WORD_1 src1_sel:DWORD
	v_fma_f16 v5, v97, v10, v5
	v_fma_f16 v1, v97, v1, -v6
	v_pack_b32_f16 v1, v5, v1
	ds_write2_b32 v138, v8, v1 offset0:36 offset1:232
	s_mov_b32 s6, 0xbcab
	s_movk_i32 s7, 0x39e0
	s_mov_b32 s12, 0xb9e0
	s_waitcnt vmcnt(7)
	v_lshrrev_b32_e32 v1, 16, v3
	v_mul_f16_sdwa v5, v96, v1 dst_sel:DWORD dst_unused:UNUSED_PAD src0_sel:WORD_1 src1_sel:DWORD
	v_fma_f16 v5, v96, v3, v5
	v_mul_f16_sdwa v3, v96, v3 dst_sel:DWORD dst_unused:UNUSED_PAD src0_sel:WORD_1 src1_sel:DWORD
	v_fma_f16 v1, v96, v1, -v3
	v_pack_b32_f16 v1, v5, v1
	ds_write2_b32 v113, v9, v1 offset0:8 offset1:204
	s_movk_i32 s1, 0x3574
	s_waitcnt vmcnt(6)
	v_lshrrev_b32_e32 v1, 16, v2
	v_mul_f16_sdwa v3, v95, v1 dst_sel:DWORD dst_unused:UNUSED_PAD src0_sel:WORD_1 src1_sel:DWORD
	v_fma_f16 v3, v95, v2, v3
	v_mul_f16_sdwa v2, v95, v2 dst_sel:DWORD dst_unused:UNUSED_PAD src0_sel:WORD_1 src1_sel:DWORD
	v_fma_f16 v1, v95, v1, -v2
	v_pack_b32_f16 v1, v3, v1
	ds_write_b32 v126, v1 offset:5488
	s_waitcnt vmcnt(5)
	v_lshrrev_b32_e32 v1, 16, v4
	v_mul_f16_sdwa v2, v94, v1 dst_sel:DWORD dst_unused:UNUSED_PAD src0_sel:WORD_1 src1_sel:DWORD
	v_mul_f16_sdwa v3, v94, v4 dst_sel:DWORD dst_unused:UNUSED_PAD src0_sel:WORD_1 src1_sel:DWORD
	v_fma_f16 v2, v94, v4, v2
	v_fma_f16 v1, v94, v1, -v3
	v_pack_b32_f16 v1, v2, v1
	ds_write_b32 v126, v1 offset:8624
	s_waitcnt vmcnt(4)
	v_lshrrev_b32_e32 v1, 16, v15
	v_mul_f16_sdwa v2, v93, v1 dst_sel:DWORD dst_unused:UNUSED_PAD src0_sel:WORD_1 src1_sel:DWORD
	v_mul_f16_sdwa v3, v93, v15 dst_sel:DWORD dst_unused:UNUSED_PAD src0_sel:WORD_1 src1_sel:DWORD
	v_fma_f16 v2, v93, v15, v2
	;; [unrolled: 8-line block ×4, first 2 shown]
	v_fma_f16 v1, v90, v1, -v3
	v_pack_b32_f16 v1, v2, v1
	ds_write_b32 v126, v1 offset:18032
	s_waitcnt vmcnt(1)
	v_lshrrev_b32_e32 v1, 16, v0
	s_waitcnt vmcnt(0)
	v_mul_f16_sdwa v2, v92, v1 dst_sel:DWORD dst_unused:UNUSED_PAD src0_sel:WORD_1 src1_sel:DWORD
	v_fma_f16 v2, v92, v0, v2
	v_mul_f16_sdwa v0, v92, v0 dst_sel:DWORD dst_unused:UNUSED_PAD src0_sel:WORD_1 src1_sel:DWORD
	v_fma_f16 v0, v92, v1, -v0
	v_pack_b32_f16 v0, v2, v0
	ds_write_b32 v126, v0 offset:21168
	s_waitcnt lgkmcnt(0)
	s_barrier
	ds_read2_b32 v[2:3], v133 offset0:16 offset1:212
	ds_read2_b32 v[4:5], v131 offset0:32 offset1:228
	;; [unrolled: 1-line block ×3, first 2 shown]
	ds_read2_b32 v[0:1], v126 offset1:196
	ds_read2_b32 v[6:7], v130 offset0:48 offset1:244
	ds_read2_b32 v[8:9], v129 offset1:196
	ds_read2_b32 v[13:14], v127 offset0:32 offset1:228
	ds_read2_b32 v[15:16], v113 offset0:8 offset1:204
	s_waitcnt lgkmcnt(5)
	v_add_f16_sdwa v34, v4, v10 dst_sel:DWORD dst_unused:UNUSED_PAD src0_sel:WORD_1 src1_sel:WORD_1
	v_sub_f16_e32 v35, v4, v10
	ds_read2_b32 v[17:18], v111 offset0:24 offset1:220
	s_waitcnt lgkmcnt(2)
	v_add_f16_e32 v31, v2, v13
	v_add_f16_sdwa v32, v2, v13 dst_sel:DWORD dst_unused:UNUSED_PAD src0_sel:WORD_1 src1_sel:WORD_1
	v_sub_f16_e32 v33, v2, v13
	v_sub_f16_sdwa v2, v2, v13 dst_sel:DWORD dst_unused:UNUSED_PAD src0_sel:WORD_1 src1_sel:WORD_1
	v_add_f16_e32 v13, v4, v10
	v_sub_f16_sdwa v4, v4, v10 dst_sel:DWORD dst_unused:UNUSED_PAD src0_sel:WORD_1 src1_sel:WORD_1
	v_add_f16_e32 v10, v6, v8
	v_add_f16_sdwa v36, v6, v8 dst_sel:DWORD dst_unused:UNUSED_PAD src0_sel:WORD_1 src1_sel:WORD_1
	v_sub_f16_e32 v37, v8, v6
	v_sub_f16_sdwa v6, v8, v6 dst_sel:DWORD dst_unused:UNUSED_PAD src0_sel:WORD_1 src1_sel:WORD_1
	v_add_f16_e32 v8, v13, v31
	v_add_f16_e32 v38, v34, v32
	v_sub_f16_e32 v39, v13, v31
	v_sub_f16_e32 v40, v34, v32
	;; [unrolled: 1-line block ×6, first 2 shown]
	v_add_f16_e32 v41, v37, v35
	v_add_f16_e32 v42, v6, v4
	v_sub_f16_e32 v43, v37, v35
	v_sub_f16_e32 v44, v6, v4
	;; [unrolled: 1-line block ×4, first 2 shown]
	v_add_f16_e32 v8, v10, v8
	v_add_f16_e32 v10, v36, v38
	v_sub_f16_e32 v37, v33, v37
	v_sub_f16_e32 v6, v2, v6
	v_add_f16_e32 v33, v41, v33
	v_add_f16_e32 v2, v42, v2
	;; [unrolled: 1-line block ×3, first 2 shown]
	v_add_f16_sdwa v0, v0, v10 dst_sel:DWORD dst_unused:UNUSED_PAD src0_sel:WORD_1 src1_sel:DWORD
	v_mul_f16_e32 v31, 0x3a52, v31
	v_mul_f16_e32 v32, 0x3a52, v32
	;; [unrolled: 1-line block ×8, first 2 shown]
	v_fma_f16 v8, v8, s6, v36
	v_fma_f16 v10, v10, s6, v0
	;; [unrolled: 1-line block ×4, first 2 shown]
	v_fma_f16 v38, v39, s7, -v38
	v_fma_f16 v41, v40, s7, -v41
	;; [unrolled: 1-line block ×4, first 2 shown]
	v_fma_f16 v39, v37, s1, v42
	v_fma_f16 v40, v6, s1, v43
	v_fma_f16 v35, v35, s15, -v42
	v_fma_f16 v4, v4, s15, -v43
	v_fma_f16 v37, v37, s13, v44
	v_fma_f16 v6, v6, s13, v45
	v_add_f16_e32 v13, v13, v8
	v_add_f16_e32 v34, v34, v10
	;; [unrolled: 1-line block ×6, first 2 shown]
	v_fma_f16 v31, v33, s14, v39
	v_fma_f16 v32, v2, s14, v40
	;; [unrolled: 1-line block ×6, first 2 shown]
	v_add_f16_e32 v6, v13, v32
	v_sub_f16_e32 v37, v34, v31
	v_add_f16_e32 v39, v2, v8
	v_sub_f16_e32 v40, v10, v33
	v_sub_f16_e32 v2, v8, v2
	v_add_f16_e32 v8, v33, v10
	v_sub_f16_e32 v10, v13, v32
	v_add_f16_e32 v13, v31, v34
	v_add_f16_e32 v31, v3, v14
	v_add_f16_sdwa v32, v3, v14 dst_sel:DWORD dst_unused:UNUSED_PAD src0_sel:WORD_1 src1_sel:WORD_1
	v_sub_f16_e32 v33, v3, v14
	v_sub_f16_sdwa v3, v3, v14 dst_sel:DWORD dst_unused:UNUSED_PAD src0_sel:WORD_1 src1_sel:WORD_1
	v_add_f16_e32 v14, v5, v11
	v_add_f16_sdwa v34, v5, v11 dst_sel:DWORD dst_unused:UNUSED_PAD src0_sel:WORD_1 src1_sel:WORD_1
	ds_read2_b32 v[19:20], v109 offset0:40 offset1:236
	ds_read2_b32 v[27:28], v105 offset0:24 offset1:220
	;; [unrolled: 1-line block ×3, first 2 shown]
	v_sub_f16_e32 v42, v38, v4
	v_add_f16_e32 v43, v35, v41
	v_add_f16_e32 v4, v4, v38
	v_sub_f16_e32 v35, v41, v35
	v_sub_f16_e32 v38, v5, v11
	v_sub_f16_sdwa v5, v5, v11 dst_sel:DWORD dst_unused:UNUSED_PAD src0_sel:WORD_1 src1_sel:WORD_1
	v_add_f16_e32 v11, v7, v9
	v_add_f16_sdwa v41, v7, v9 dst_sel:DWORD dst_unused:UNUSED_PAD src0_sel:WORD_1 src1_sel:WORD_1
	v_sub_f16_e32 v44, v9, v7
	v_sub_f16_sdwa v7, v9, v7 dst_sel:DWORD dst_unused:UNUSED_PAD src0_sel:WORD_1 src1_sel:WORD_1
	v_add_f16_e32 v9, v14, v31
	v_add_f16_e32 v45, v34, v32
	ds_read2_b32 v[21:22], v107 offset0:56 offset1:252
	ds_read2_b32 v[23:24], v106 offset0:8 offset1:204
	v_sub_f16_e32 v46, v14, v31
	v_sub_f16_e32 v47, v34, v32
	;; [unrolled: 1-line block ×6, first 2 shown]
	v_add_f16_e32 v48, v44, v38
	v_add_f16_e32 v49, v7, v5
	v_sub_f16_e32 v50, v44, v38
	v_sub_f16_e32 v51, v7, v5
	v_sub_f16_e32 v38, v38, v33
	v_sub_f16_e32 v5, v5, v3
	v_add_f16_e32 v9, v11, v9
	v_add_f16_e32 v11, v41, v45
	v_sub_f16_e32 v44, v33, v44
	v_sub_f16_e32 v7, v3, v7
	v_add_f16_e32 v33, v48, v33
	v_add_f16_e32 v3, v49, v3
	;; [unrolled: 1-line block ×3, first 2 shown]
	v_add_f16_sdwa v1, v1, v11 dst_sel:DWORD dst_unused:UNUSED_PAD src0_sel:WORD_1 src1_sel:DWORD
	v_mul_f16_e32 v31, 0x3a52, v31
	v_mul_f16_e32 v32, 0x3a52, v32
	;; [unrolled: 1-line block ×8, first 2 shown]
	v_fma_f16 v9, v9, s6, v41
	v_fma_f16 v11, v11, s6, v1
	v_fma_f16 v14, v14, s0, v31
	v_fma_f16 v34, v34, s0, v32
	v_fma_f16 v45, v46, s7, -v45
	v_fma_f16 v48, v47, s7, -v48
	;; [unrolled: 1-line block ×4, first 2 shown]
	v_fma_f16 v46, v44, s1, v49
	v_fma_f16 v47, v7, s1, v50
	v_fma_f16 v38, v38, s15, -v49
	v_fma_f16 v5, v5, s15, -v50
	v_fma_f16 v44, v44, s13, v51
	v_fma_f16 v7, v7, s13, v52
	v_add_f16_e32 v14, v14, v9
	v_add_f16_e32 v34, v34, v11
	;; [unrolled: 1-line block ×6, first 2 shown]
	v_fma_f16 v31, v33, s14, v46
	v_fma_f16 v32, v3, s14, v47
	v_fma_f16 v38, v33, s14, v38
	v_fma_f16 v5, v3, s14, v5
	v_fma_f16 v33, v33, s14, v44
	v_fma_f16 v3, v3, s14, v7
	v_add_f16_e32 v7, v14, v32
	v_sub_f16_e32 v44, v34, v31
	v_add_f16_e32 v46, v3, v9
	v_sub_f16_e32 v47, v11, v33
	v_sub_f16_e32 v3, v9, v3
	v_add_f16_e32 v9, v33, v11
	v_sub_f16_e32 v11, v14, v32
	v_add_f16_e32 v14, v31, v34
	s_waitcnt lgkmcnt(2)
	v_add_f16_e32 v31, v17, v29
	v_add_f16_sdwa v32, v17, v29 dst_sel:DWORD dst_unused:UNUSED_PAD src0_sel:WORD_1 src1_sel:WORD_1
	v_sub_f16_e32 v33, v17, v29
	v_sub_f16_sdwa v17, v17, v29 dst_sel:DWORD dst_unused:UNUSED_PAD src0_sel:WORD_1 src1_sel:WORD_1
	v_add_f16_e32 v29, v19, v27
	v_add_f16_sdwa v34, v19, v27 dst_sel:DWORD dst_unused:UNUSED_PAD src0_sel:WORD_1 src1_sel:WORD_1
	v_sub_f16_e32 v49, v45, v5
	v_add_f16_e32 v50, v38, v48
	v_add_f16_e32 v5, v5, v45
	v_sub_f16_e32 v38, v48, v38
	v_sub_f16_e32 v45, v19, v27
	v_sub_f16_sdwa v19, v19, v27 dst_sel:DWORD dst_unused:UNUSED_PAD src0_sel:WORD_1 src1_sel:WORD_1
	s_waitcnt lgkmcnt(0)
	v_add_f16_e32 v27, v21, v23
	v_add_f16_sdwa v48, v21, v23 dst_sel:DWORD dst_unused:UNUSED_PAD src0_sel:WORD_1 src1_sel:WORD_1
	v_sub_f16_e32 v51, v23, v21
	v_sub_f16_sdwa v21, v23, v21 dst_sel:DWORD dst_unused:UNUSED_PAD src0_sel:WORD_1 src1_sel:WORD_1
	v_add_f16_e32 v23, v29, v31
	v_add_f16_e32 v52, v34, v32
	v_sub_f16_e32 v53, v29, v31
	v_sub_f16_e32 v54, v34, v32
	;; [unrolled: 1-line block ×6, first 2 shown]
	v_add_f16_e32 v55, v51, v45
	v_add_f16_e32 v56, v21, v19
	v_sub_f16_e32 v57, v51, v45
	v_sub_f16_e32 v58, v21, v19
	;; [unrolled: 1-line block ×4, first 2 shown]
	v_add_f16_e32 v23, v27, v23
	v_add_f16_e32 v27, v48, v52
	v_sub_f16_e32 v51, v33, v51
	v_sub_f16_e32 v21, v17, v21
	v_add_f16_e32 v33, v55, v33
	v_add_f16_e32 v17, v56, v17
	v_add_f16_e32 v48, v15, v23
	v_add_f16_sdwa v15, v15, v27 dst_sel:DWORD dst_unused:UNUSED_PAD src0_sel:WORD_1 src1_sel:DWORD
	v_mul_f16_e32 v31, 0x3a52, v31
	v_mul_f16_e32 v32, 0x3a52, v32
	v_mul_f16_e32 v52, 0x2b26, v29
	v_mul_f16_e32 v55, 0x2b26, v34
	v_mul_f16_e32 v56, 0xb846, v57
	v_mul_f16_e32 v57, 0xb846, v58
	v_mul_f16_e32 v58, 0xbb00, v45
	v_mul_f16_e32 v59, 0xbb00, v19
	v_fma_f16 v23, v23, s6, v48
	v_fma_f16 v27, v27, s6, v15
	;; [unrolled: 1-line block ×4, first 2 shown]
	v_fma_f16 v52, v53, s7, -v52
	v_fma_f16 v55, v54, s7, -v55
	;; [unrolled: 1-line block ×4, first 2 shown]
	v_fma_f16 v53, v51, s1, v56
	v_fma_f16 v54, v21, s1, v57
	v_fma_f16 v45, v45, s15, -v56
	v_fma_f16 v19, v19, s15, -v57
	v_fma_f16 v51, v51, s13, v58
	v_fma_f16 v21, v21, s13, v59
	v_add_f16_e32 v29, v29, v23
	v_add_f16_e32 v34, v34, v27
	;; [unrolled: 1-line block ×6, first 2 shown]
	v_fma_f16 v31, v33, s14, v53
	v_fma_f16 v32, v17, s14, v54
	;; [unrolled: 1-line block ×6, first 2 shown]
	v_add_f16_e32 v21, v29, v32
	v_sub_f16_e32 v51, v34, v31
	v_add_f16_e32 v53, v17, v23
	v_sub_f16_e32 v54, v27, v33
	v_sub_f16_e32 v17, v23, v17
	v_add_f16_e32 v23, v33, v27
	v_sub_f16_e32 v27, v29, v32
	v_add_f16_e32 v29, v31, v34
	v_add_f16_e32 v31, v18, v30
	v_add_f16_sdwa v32, v18, v30 dst_sel:DWORD dst_unused:UNUSED_PAD src0_sel:WORD_1 src1_sel:WORD_1
	v_sub_f16_e32 v33, v18, v30
	v_sub_f16_sdwa v18, v18, v30 dst_sel:DWORD dst_unused:UNUSED_PAD src0_sel:WORD_1 src1_sel:WORD_1
	v_add_f16_e32 v30, v20, v28
	v_add_f16_sdwa v34, v20, v28 dst_sel:DWORD dst_unused:UNUSED_PAD src0_sel:WORD_1 src1_sel:WORD_1
	v_sub_f16_e32 v56, v52, v19
	v_add_f16_e32 v57, v45, v55
	v_add_f16_e32 v19, v19, v52
	v_sub_f16_e32 v45, v55, v45
	v_sub_f16_e32 v52, v20, v28
	v_sub_f16_sdwa v20, v20, v28 dst_sel:DWORD dst_unused:UNUSED_PAD src0_sel:WORD_1 src1_sel:WORD_1
	v_add_f16_e32 v28, v22, v24
	v_add_f16_sdwa v55, v22, v24 dst_sel:DWORD dst_unused:UNUSED_PAD src0_sel:WORD_1 src1_sel:WORD_1
	v_sub_f16_e32 v58, v24, v22
	v_sub_f16_sdwa v22, v24, v22 dst_sel:DWORD dst_unused:UNUSED_PAD src0_sel:WORD_1 src1_sel:WORD_1
	v_add_f16_e32 v24, v30, v31
	v_add_f16_e32 v59, v34, v32
	v_sub_f16_e32 v60, v30, v31
	v_sub_f16_e32 v61, v34, v32
	;; [unrolled: 1-line block ×6, first 2 shown]
	v_add_f16_e32 v62, v58, v52
	v_add_f16_e32 v63, v22, v20
	v_sub_f16_e32 v64, v58, v52
	v_sub_f16_e32 v65, v22, v20
	;; [unrolled: 1-line block ×4, first 2 shown]
	v_add_f16_e32 v24, v28, v24
	v_add_f16_e32 v28, v55, v59
	v_sub_f16_e32 v58, v33, v58
	v_sub_f16_e32 v22, v18, v22
	v_add_f16_e32 v33, v62, v33
	v_add_f16_e32 v18, v63, v18
	;; [unrolled: 1-line block ×3, first 2 shown]
	v_add_f16_sdwa v16, v16, v28 dst_sel:DWORD dst_unused:UNUSED_PAD src0_sel:WORD_1 src1_sel:DWORD
	v_mul_f16_e32 v31, 0x3a52, v31
	v_mul_f16_e32 v32, 0x3a52, v32
	v_mul_f16_e32 v59, 0x2b26, v30
	v_mul_f16_e32 v62, 0x2b26, v34
	v_mul_f16_e32 v63, 0xb846, v64
	v_mul_f16_e32 v64, 0xb846, v65
	v_mul_f16_e32 v65, 0xbb00, v52
	v_mul_f16_e32 v66, 0xbb00, v20
	v_fma_f16 v24, v24, s6, v55
	v_fma_f16 v28, v28, s6, v16
	;; [unrolled: 1-line block ×4, first 2 shown]
	v_fma_f16 v59, v60, s7, -v59
	v_fma_f16 v62, v61, s7, -v62
	;; [unrolled: 1-line block ×4, first 2 shown]
	v_fma_f16 v60, v58, s1, v63
	v_fma_f16 v61, v22, s1, v64
	v_fma_f16 v52, v52, s15, -v63
	v_fma_f16 v20, v20, s15, -v64
	v_fma_f16 v58, v58, s13, v65
	v_fma_f16 v22, v22, s13, v66
	v_add_f16_e32 v30, v30, v24
	v_add_f16_e32 v34, v34, v28
	;; [unrolled: 1-line block ×6, first 2 shown]
	v_fma_f16 v31, v33, s14, v60
	v_fma_f16 v32, v18, s14, v61
	;; [unrolled: 1-line block ×6, first 2 shown]
	v_add_f16_e32 v22, v30, v32
	v_sub_f16_e32 v58, v34, v31
	v_add_f16_e32 v60, v18, v24
	v_sub_f16_e32 v61, v28, v33
	v_sub_f16_e32 v18, v24, v18
	v_add_f16_e32 v24, v33, v28
	v_sub_f16_e32 v28, v30, v32
	v_add_f16_e32 v30, v31, v34
	v_mul_lo_u16_e32 v31, 7, v124
	v_lshlrev_b32_e32 v148, 2, v31
	v_pack_b32_f16 v6, v6, v37
	v_pack_b32_f16 v0, v36, v0
	s_barrier
	ds_write2_b32 v148, v0, v6 offset1:1
	v_pack_b32_f16 v0, v42, v43
	v_pack_b32_f16 v6, v39, v40
	ds_write2_b32 v148, v6, v0 offset0:2 offset1:3
	v_pack_b32_f16 v0, v2, v8
	v_pack_b32_f16 v2, v4, v35
	ds_write2_b32 v148, v2, v0 offset0:4 offset1:5
	v_pack_b32_f16 v0, v10, v13
	ds_write_b32 v148, v0 offset:24
	v_mul_u32_u24_e32 v0, 7, v12
	v_lshlrev_b32_e32 v147, 2, v0
	v_pack_b32_f16 v0, v7, v44
	v_pack_b32_f16 v1, v41, v1
	ds_write2_b32 v147, v1, v0 offset1:1
	v_pack_b32_f16 v0, v49, v50
	v_pack_b32_f16 v1, v46, v47
	ds_write2_b32 v147, v1, v0 offset0:2 offset1:3
	v_pack_b32_f16 v0, v3, v9
	v_pack_b32_f16 v1, v5, v38
	ds_write2_b32 v147, v1, v0 offset0:4 offset1:5
	v_pack_b32_f16 v0, v11, v14
	ds_write_b32 v147, v0 offset:24
	v_mul_u32_u24_e32 v0, 7, v25
	v_lshlrev_b32_e32 v143, 2, v0
	v_pack_b32_f16 v0, v21, v51
	v_pack_b32_f16 v1, v48, v15
	ds_write2_b32 v143, v1, v0 offset1:1
	v_pack_b32_f16 v0, v56, v57
	v_pack_b32_f16 v1, v53, v54
	ds_write2_b32 v143, v1, v0 offset0:2 offset1:3
	v_pack_b32_f16 v0, v17, v23
	v_pack_b32_f16 v1, v19, v45
	ds_write2_b32 v143, v1, v0 offset0:4 offset1:5
	v_pack_b32_f16 v0, v27, v29
	ds_write_b32 v143, v0 offset:24
	v_mul_u32_u24_e32 v0, 7, v26
	v_sub_f16_e32 v63, v59, v20
	v_add_f16_e32 v64, v52, v62
	v_lshlrev_b32_e32 v141, 2, v0
	v_pack_b32_f16 v0, v22, v58
	v_pack_b32_f16 v1, v55, v16
	v_add_f16_e32 v20, v20, v59
	v_sub_f16_e32 v52, v62, v52
	ds_write2_b32 v141, v1, v0 offset1:1
	v_pack_b32_f16 v0, v63, v64
	v_pack_b32_f16 v1, v60, v61
	ds_write2_b32 v141, v1, v0 offset0:2 offset1:3
	v_pack_b32_f16 v0, v18, v24
	v_pack_b32_f16 v1, v20, v52
	ds_write2_b32 v141, v1, v0 offset0:4 offset1:5
	v_pack_b32_f16 v0, v28, v30
	ds_write_b32 v141, v0 offset:24
	v_mov_b32_e32 v0, 37
	v_mul_lo_u16_sdwa v0, v124, v0 dst_sel:DWORD dst_unused:UNUSED_PAD src0_sel:BYTE_0 src1_sel:DWORD
	v_sub_u16_sdwa v1, v124, v0 dst_sel:DWORD dst_unused:UNUSED_PAD src0_sel:DWORD src1_sel:BYTE_1
	v_lshrrev_b16_e32 v1, 1, v1
	v_and_b32_e32 v1, 0x7f, v1
	v_add_u16_sdwa v0, v1, v0 dst_sel:DWORD dst_unused:UNUSED_PAD src0_sel:DWORD src1_sel:BYTE_1
	v_lshrrev_b16_e32 v31, 2, v0
	v_mul_lo_u16_e32 v0, 7, v31
	v_sub_u16_e32 v0, v124, v0
	v_and_b32_e32 v50, 0xff, v0
	v_mad_u64_u32 v[0:1], s[18:19], v50, 12, s[2:3]
	s_waitcnt lgkmcnt(0)
	s_barrier
	global_load_dwordx3 v[32:34], v[0:1], off
	v_mul_u32_u24_sdwa v4, v12, s17 dst_sel:DWORD dst_unused:UNUSED_PAD src0_sel:WORD_0 src1_sel:DWORD
	v_sub_u16_sdwa v5, v12, v4 dst_sel:DWORD dst_unused:UNUSED_PAD src0_sel:DWORD src1_sel:WORD_1
	v_lshrrev_b16_e32 v5, 1, v5
	v_add_u16_sdwa v4, v5, v4 dst_sel:DWORD dst_unused:UNUSED_PAD src0_sel:DWORD src1_sel:WORD_1
	v_lshrrev_b16_e32 v61, 2, v4
	v_mul_lo_u16_e32 v4, 7, v61
	ds_read2_b32 v[8:9], v126 offset1:196
	ds_read2_b32 v[0:1], v111 offset0:24 offset1:220
	ds_read2_b32 v[10:11], v107 offset0:56 offset1:252
	;; [unrolled: 1-line block ×3, first 2 shown]
	v_sub_u16_e32 v62, v12, v4
	v_mul_lo_u16_e32 v4, 12, v62
	v_mov_b32_e32 v27, s3
	v_add_co_u32_e32 v4, vcc, s2, v4
	s_waitcnt lgkmcnt(2)
	v_lshrrev_b32_e32 v6, 16, v1
	v_addc_co_u32_e32 v5, vcc, 0, v27, vcc
	ds_read2_b32 v[13:14], v131 offset0:32 offset1:228
	ds_read2_b32 v[15:16], v105 offset0:24 offset1:220
	;; [unrolled: 1-line block ×3, first 2 shown]
	ds_read2_b32 v[19:20], v129 offset1:196
	ds_read2_b32 v[21:22], v109 offset0:40 offset1:236
	global_load_dwordx3 v[35:37], v[4:5], off
	s_waitcnt lgkmcnt(6)
	v_lshrrev_b32_e32 v7, 16, v10
	s_waitcnt lgkmcnt(5)
	v_lshrrev_b32_e32 v23, 16, v3
	v_add_u16_e32 v28, 0x310, v124
	v_add_u16_e32 v29, 0x3d4, v124
	;; [unrolled: 1-line block ×3, first 2 shown]
	v_lshrrev_b32_e32 v51, 16, v8
	s_waitcnt vmcnt(1)
	v_mul_f16_sdwa v4, v6, v32 dst_sel:DWORD dst_unused:UNUSED_PAD src0_sel:DWORD src1_sel:WORD_1
	v_fma_f16 v52, v1, v32, -v4
	v_mul_f16_sdwa v1, v1, v32 dst_sel:DWORD dst_unused:UNUSED_PAD src0_sel:DWORD src1_sel:WORD_1
	v_fma_f16 v53, v6, v32, v1
	v_mul_f16_sdwa v1, v7, v33 dst_sel:DWORD dst_unused:UNUSED_PAD src0_sel:DWORD src1_sel:WORD_1
	v_fma_f16 v54, v10, v33, -v1
	v_mul_f16_sdwa v1, v10, v33 dst_sel:DWORD dst_unused:UNUSED_PAD src0_sel:DWORD src1_sel:WORD_1
	v_fma_f16 v10, v7, v33, v1
	;; [unrolled: 4-line block ×3, first 2 shown]
	v_mul_u32_u24_sdwa v1, v25, s17 dst_sel:DWORD dst_unused:UNUSED_PAD src0_sel:WORD_0 src1_sel:DWORD
	v_sub_u16_sdwa v3, v25, v1 dst_sel:DWORD dst_unused:UNUSED_PAD src0_sel:DWORD src1_sel:WORD_1
	v_lshrrev_b16_e32 v3, 1, v3
	v_add_u16_sdwa v1, v3, v1 dst_sel:DWORD dst_unused:UNUSED_PAD src0_sel:DWORD src1_sel:WORD_1
	v_lshrrev_b16_e32 v63, 2, v1
	v_mul_lo_u16_e32 v1, 7, v63
	v_sub_u16_e32 v64, v25, v1
	v_mul_lo_u16_e32 v1, 12, v64
	v_add_co_u32_e32 v3, vcc, s2, v1
	v_mul_u32_u24_sdwa v1, v26, s17 dst_sel:DWORD dst_unused:UNUSED_PAD src0_sel:WORD_0 src1_sel:DWORD
	v_sub_u16_sdwa v5, v26, v1 dst_sel:DWORD dst_unused:UNUSED_PAD src0_sel:DWORD src1_sel:WORD_1
	v_lshrrev_b16_e32 v5, 1, v5
	v_add_u16_sdwa v1, v5, v1 dst_sel:DWORD dst_unused:UNUSED_PAD src0_sel:DWORD src1_sel:WORD_1
	v_lshrrev_b16_e32 v65, 2, v1
	v_mul_lo_u16_e32 v1, 7, v65
	v_sub_u16_e32 v66, v26, v1
	v_addc_co_u32_e32 v4, vcc, 0, v27, vcc
	v_mul_lo_u16_e32 v1, 12, v66
	v_add_co_u32_e32 v5, vcc, s2, v1
	v_mul_u32_u24_e32 v1, 0x2493, v28
	v_addc_co_u32_e32 v6, vcc, 0, v27, vcc
	global_load_dwordx3 v[44:46], v[3:4], off
	global_load_dwordx3 v[38:40], v[5:6], off
	v_sub_u16_sdwa v3, v28, v1 dst_sel:DWORD dst_unused:UNUSED_PAD src0_sel:DWORD src1_sel:WORD_1
	v_lshrrev_b16_e32 v3, 1, v3
	v_add_u16_sdwa v1, v3, v1 dst_sel:DWORD dst_unused:UNUSED_PAD src0_sel:DWORD src1_sel:WORD_1
	v_lshrrev_b16_e32 v6, 2, v1
	v_mul_lo_u16_e32 v1, 7, v6
	v_sub_u16_e32 v7, v28, v1
	v_mul_lo_u16_e32 v1, 12, v7
	v_add_co_u32_e32 v4, vcc, s2, v1
	v_mul_u32_u24_e32 v1, 0x2493, v29
	v_sub_u16_sdwa v3, v29, v1 dst_sel:DWORD dst_unused:UNUSED_PAD src0_sel:DWORD src1_sel:WORD_1
	v_lshrrev_b16_e32 v3, 1, v3
	v_add_u16_sdwa v1, v3, v1 dst_sel:DWORD dst_unused:UNUSED_PAD src0_sel:DWORD src1_sel:WORD_1
	v_lshrrev_b16_e32 v1, 2, v1
	v_mul_lo_u16_e32 v3, 7, v1
	v_sub_u16_e32 v3, v29, v3
	v_addc_co_u32_e32 v5, vcc, 0, v27, vcc
	v_mul_lo_u16_e32 v23, 12, v3
	v_add_co_u32_e32 v23, vcc, s2, v23
	v_addc_co_u32_e32 v24, vcc, 0, v27, vcc
	global_load_dwordx3 v[47:49], v[4:5], off
	global_load_dwordx3 v[41:43], v[23:24], off
	v_mul_u32_u24_e32 v4, 0x2493, v30
	v_sub_u16_sdwa v5, v30, v4 dst_sel:DWORD dst_unused:UNUSED_PAD src0_sel:DWORD src1_sel:WORD_1
	v_lshrrev_b16_e32 v5, 1, v5
	v_add_u16_sdwa v4, v5, v4 dst_sel:DWORD dst_unused:UNUSED_PAD src0_sel:DWORD src1_sel:WORD_1
	v_lshrrev_b16_e32 v4, 2, v4
	v_mul_u32_u24_e32 v24, 28, v31
	v_mul_lo_u16_e32 v5, 7, v4
	v_sub_f16_e32 v54, v8, v54
	v_sub_f16_e32 v10, v51, v10
	v_add_lshl_u32 v142, v24, v50, 2
	v_sub_f16_e32 v31, v52, v55
	v_sub_f16_e32 v50, v53, v56
	v_sub_u16_e32 v5, v30, v5
	v_fma_f16 v8, v8, 2.0, -v54
	v_fma_f16 v24, v51, 2.0, -v10
	v_fma_f16 v51, v52, 2.0, -v31
	v_fma_f16 v52, v53, 2.0, -v50
	v_mul_lo_u16_e32 v23, 12, v5
	v_sub_f16_e32 v67, v8, v51
	v_sub_f16_e32 v68, v24, v52
	v_fma_f16 v8, v8, 2.0, -v67
	v_fma_f16 v24, v24, 2.0, -v68
	v_add_co_u32_e32 v23, vcc, s2, v23
	v_sub_f16_e32 v69, v54, v50
	v_add_f16_e32 v31, v10, v31
	v_pack_b32_f16 v8, v8, v24
	v_addc_co_u32_e32 v24, vcc, 0, v27, vcc
	v_fma_f16 v50, v54, 2.0, -v69
	v_fma_f16 v10, v10, 2.0, -v31
	v_pack_b32_f16 v10, v50, v10
	global_load_dwordx3 v[50:52], v[23:24], off
	ds_read2_b32 v[23:24], v127 offset0:32 offset1:228
	ds_read2_b32 v[53:54], v133 offset0:16 offset1:212
	;; [unrolled: 1-line block ×5, first 2 shown]
	s_waitcnt vmcnt(0) lgkmcnt(0)
	s_barrier
	ds_write2_b32 v142, v8, v10 offset1:7
	v_pack_b32_f16 v8, v67, v68
	v_pack_b32_f16 v10, v69, v31
	v_mad_legacy_u16 v31, v61, 28, v62
	v_lshrrev_b32_e32 v61, 16, v13
	v_mul_f16_sdwa v62, v13, v35 dst_sel:DWORD dst_unused:UNUSED_PAD src0_sel:DWORD src1_sel:WORD_1
	ds_write2_b32 v142, v8, v10 offset0:14 offset1:21
	v_lshrrev_b32_e32 v8, 16, v11
	v_fma_f16 v62, v61, v35, v62
	v_mul_f16_sdwa v61, v61, v35 dst_sel:DWORD dst_unused:UNUSED_PAD src0_sel:DWORD src1_sel:WORD_1
	v_mul_f16_sdwa v10, v8, v36 dst_sel:DWORD dst_unused:UNUSED_PAD src0_sel:DWORD src1_sel:WORD_1
	v_fma_f16 v13, v13, v35, -v61
	v_lshrrev_b32_e32 v61, 16, v15
	v_mul_f16_sdwa v67, v15, v37 dst_sel:DWORD dst_unused:UNUSED_PAD src0_sel:DWORD src1_sel:WORD_1
	v_fma_f16 v10, v11, v36, -v10
	v_mul_f16_sdwa v11, v11, v36 dst_sel:DWORD dst_unused:UNUSED_PAD src0_sel:DWORD src1_sel:WORD_1
	v_fma_f16 v67, v61, v37, v67
	v_mul_f16_sdwa v61, v61, v37 dst_sel:DWORD dst_unused:UNUSED_PAD src0_sel:DWORD src1_sel:WORD_1
	v_fma_f16 v8, v8, v36, v11
	v_lshrrev_b32_e32 v11, 16, v9
	v_fma_f16 v15, v15, v37, -v61
	v_sub_f16_e32 v10, v9, v10
	v_sub_f16_e32 v8, v11, v8
	;; [unrolled: 1-line block ×4, first 2 shown]
	v_fma_f16 v9, v9, 2.0, -v10
	v_fma_f16 v11, v11, 2.0, -v8
	;; [unrolled: 1-line block ×4, first 2 shown]
	v_sub_f16_e32 v13, v9, v13
	v_sub_f16_e32 v62, v11, v62
	v_fma_f16 v9, v9, 2.0, -v13
	v_fma_f16 v11, v11, 2.0, -v62
	v_pack_b32_f16 v9, v9, v11
	v_sub_f16_e32 v11, v10, v61
	v_add_f16_e32 v15, v8, v15
	v_fma_f16 v10, v10, 2.0, -v11
	v_fma_f16 v8, v8, 2.0, -v15
	v_pack_b32_f16 v8, v10, v8
	v_lshlrev_b32_e32 v144, 2, v31
	ds_write2_b32 v144, v9, v8 offset1:7
	v_pack_b32_f16 v8, v13, v62
	v_pack_b32_f16 v9, v11, v15
	ds_write2_b32 v144, v8, v9 offset0:14 offset1:21
	v_lshrrev_b32_e32 v8, 16, v14
	v_mul_f16_sdwa v10, v14, v44 dst_sel:DWORD dst_unused:UNUSED_PAD src0_sel:DWORD src1_sel:WORD_1
	v_mul_f16_sdwa v9, v8, v44 dst_sel:DWORD dst_unused:UNUSED_PAD src0_sel:DWORD src1_sel:WORD_1
	v_fma_f16 v8, v8, v44, v10
	v_lshrrev_b32_e32 v10, 16, v16
	v_mul_f16_sdwa v13, v16, v46 dst_sel:DWORD dst_unused:UNUSED_PAD src0_sel:DWORD src1_sel:WORD_1
	v_mul_f16_sdwa v11, v10, v46 dst_sel:DWORD dst_unused:UNUSED_PAD src0_sel:DWORD src1_sel:WORD_1
	v_fma_f16 v10, v10, v46, v13
	v_lshrrev_b32_e32 v13, 16, v19
	v_mul_f16_sdwa v15, v19, v45 dst_sel:DWORD dst_unused:UNUSED_PAD src0_sel:DWORD src1_sel:WORD_1
	v_fma_f16 v15, v13, v45, v15
	v_mul_f16_sdwa v13, v13, v45 dst_sel:DWORD dst_unused:UNUSED_PAD src0_sel:DWORD src1_sel:WORD_1
	v_fma_f16 v9, v14, v44, -v9
	v_fma_f16 v11, v16, v46, -v11
	;; [unrolled: 1-line block ×3, first 2 shown]
	v_lshrrev_b32_e32 v16, 16, v17
	v_sub_f16_e32 v13, v17, v13
	v_sub_f16_e32 v15, v16, v15
	;; [unrolled: 1-line block ×4, first 2 shown]
	v_fma_f16 v16, v16, 2.0, -v15
	v_fma_f16 v9, v9, 2.0, -v11
	;; [unrolled: 1-line block ×4, first 2 shown]
	v_mad_legacy_u16 v14, v63, 28, v64
	v_sub_f16_e32 v9, v17, v9
	v_sub_f16_e32 v8, v16, v8
	;; [unrolled: 1-line block ×3, first 2 shown]
	v_add_f16_e32 v11, v15, v11
	v_fma_f16 v17, v17, 2.0, -v9
	v_fma_f16 v16, v16, 2.0, -v8
	;; [unrolled: 1-line block ×3, first 2 shown]
	v_lshlrev_b32_e32 v145, 2, v14
	v_pack_b32_f16 v8, v9, v8
	v_lshrrev_b32_e32 v9, 16, v20
	v_pack_b32_f16 v10, v10, v11
	ds_write2_b32 v145, v8, v10 offset0:14 offset1:21
	v_mul_f16_sdwa v10, v9, v39 dst_sel:DWORD dst_unused:UNUSED_PAD src0_sel:DWORD src1_sel:WORD_1
	v_fma_f16 v15, v15, 2.0, -v11
	v_fma_f16 v10, v20, v39, -v10
	v_pack_b32_f16 v16, v17, v16
	v_pack_b32_f16 v13, v13, v15
	v_sub_f16_e32 v10, v18, v10
	ds_write2_b32 v145, v16, v13 offset1:7
	v_lshrrev_b32_e32 v13, 16, v18
	v_lshrrev_b32_e32 v14, 16, v21
	;; [unrolled: 1-line block ×3, first 2 shown]
	v_mul_f16_sdwa v15, v20, v39 dst_sel:DWORD dst_unused:UNUSED_PAD src0_sel:DWORD src1_sel:WORD_1
	v_fma_f16 v17, v18, 2.0, -v10
	v_mul_f16_sdwa v18, v21, v38 dst_sel:DWORD dst_unused:UNUSED_PAD src0_sel:DWORD src1_sel:WORD_1
	v_mul_f16_sdwa v20, v23, v40 dst_sel:DWORD dst_unused:UNUSED_PAD src0_sel:DWORD src1_sel:WORD_1
	v_fma_f16 v18, v14, v38, v18
	v_mul_f16_sdwa v14, v14, v38 dst_sel:DWORD dst_unused:UNUSED_PAD src0_sel:DWORD src1_sel:WORD_1
	v_fma_f16 v20, v11, v40, v20
	;; [unrolled: 2-line block ×3, first 2 shown]
	v_fma_f16 v14, v21, v38, -v14
	v_fma_f16 v11, v23, v40, -v11
	v_sub_f16_e32 v9, v13, v9
	v_sub_f16_e32 v11, v14, v11
	;; [unrolled: 1-line block ×3, first 2 shown]
	v_fma_f16 v13, v13, 2.0, -v9
	v_fma_f16 v14, v14, 2.0, -v11
	;; [unrolled: 1-line block ×3, first 2 shown]
	v_sub_f16_e32 v14, v17, v14
	v_sub_f16_e32 v18, v13, v18
	;; [unrolled: 1-line block ×3, first 2 shown]
	v_add_f16_e32 v11, v9, v11
	v_mad_legacy_u16 v19, v65, 28, v66
	v_fma_f16 v17, v17, 2.0, -v14
	v_fma_f16 v13, v13, 2.0, -v18
	;; [unrolled: 1-line block ×4, first 2 shown]
	v_lshrrev_b32_e32 v8, 16, v22
	v_pack_b32_f16 v13, v17, v13
	v_pack_b32_f16 v9, v10, v9
	v_lshlrev_b32_e32 v146, 2, v19
	ds_write2_b32 v146, v13, v9 offset1:7
	v_mul_f16_sdwa v13, v8, v47 dst_sel:DWORD dst_unused:UNUSED_PAD src0_sel:DWORD src1_sel:WORD_1
	v_lshrrev_b32_e32 v16, 16, v55
	v_lshrrev_b32_e32 v15, 16, v24
	;; [unrolled: 1-line block ×3, first 2 shown]
	v_fma_f16 v13, v22, v47, -v13
	v_mul_f16_sdwa v19, v22, v47 dst_sel:DWORD dst_unused:UNUSED_PAD src0_sel:DWORD src1_sel:WORD_1
	v_mul_f16_sdwa v22, v24, v49 dst_sel:DWORD dst_unused:UNUSED_PAD src0_sel:DWORD src1_sel:WORD_1
	;; [unrolled: 1-line block ×3, first 2 shown]
	v_fma_f16 v8, v8, v47, v19
	v_mul_f16_sdwa v19, v15, v49 dst_sel:DWORD dst_unused:UNUSED_PAD src0_sel:DWORD src1_sel:WORD_1
	v_fma_f16 v23, v16, v48, v23
	v_mul_f16_sdwa v16, v16, v48 dst_sel:DWORD dst_unused:UNUSED_PAD src0_sel:DWORD src1_sel:WORD_1
	;; [unrolled: 2-line block ×3, first 2 shown]
	v_lshrrev_b32_e32 v21, 16, v58
	v_fma_f16 v19, v24, v49, -v19
	v_fma_f16 v16, v55, v48, -v16
	;; [unrolled: 1-line block ×3, first 2 shown]
	v_mul_f16_sdwa v24, v56, v42 dst_sel:DWORD dst_unused:UNUSED_PAD src0_sel:DWORD src1_sel:WORD_1
	v_mul_f16_sdwa v55, v58, v50 dst_sel:DWORD dst_unused:UNUSED_PAD src0_sel:DWORD src1_sel:WORD_1
	v_lshrrev_b32_e32 v56, 16, v2
	v_fma_f16 v10, v10, v42, v24
	v_mul_f16_sdwa v24, v21, v50 dst_sel:DWORD dst_unused:UNUSED_PAD src0_sel:DWORD src1_sel:WORD_1
	v_fma_f16 v21, v21, v50, v55
	v_mul_f16_sdwa v55, v56, v51 dst_sel:DWORD dst_unused:UNUSED_PAD src0_sel:DWORD src1_sel:WORD_1
	v_fma_f16 v55, v2, v51, -v55
	v_mul_f16_sdwa v2, v2, v51 dst_sel:DWORD dst_unused:UNUSED_PAD src0_sel:DWORD src1_sel:WORD_1
	v_lshrrev_b32_e32 v17, 16, v57
	v_lshrrev_b32_e32 v9, 16, v59
	v_mul_f16_sdwa v31, v57, v41 dst_sel:DWORD dst_unused:UNUSED_PAD src0_sel:DWORD src1_sel:WORD_1
	v_fma_f16 v2, v56, v51, v2
	v_mul_f16_sdwa v56, v59, v43 dst_sel:DWORD dst_unused:UNUSED_PAD src0_sel:DWORD src1_sel:WORD_1
	v_fma_f16 v31, v17, v41, v31
	;; [unrolled: 2-line block ×3, first 2 shown]
	v_mul_f16_sdwa v9, v9, v43 dst_sel:DWORD dst_unused:UNUSED_PAD src0_sel:DWORD src1_sel:WORD_1
	v_fma_f16 v17, v57, v41, -v17
	v_lshrrev_b32_e32 v57, 16, v60
	v_fma_f16 v9, v59, v43, -v9
	v_mul_f16_sdwa v59, v60, v52 dst_sel:DWORD dst_unused:UNUSED_PAD src0_sel:DWORD src1_sel:WORD_1
	v_fma_f16 v24, v58, v50, -v24
	v_mul_f16_sdwa v58, v57, v52 dst_sel:DWORD dst_unused:UNUSED_PAD src0_sel:DWORD src1_sel:WORD_1
	v_fma_f16 v57, v57, v52, v59
	v_lshrrev_b32_e32 v59, 16, v53
	v_fma_f16 v58, v60, v52, -v58
	v_sub_f16_e32 v16, v53, v16
	v_lshrrev_b32_e32 v60, 16, v54
	v_pack_b32_f16 v14, v14, v18
	v_sub_f16_e32 v18, v59, v23
	v_sub_f16_e32 v19, v13, v19
	;; [unrolled: 1-line block ×4, first 2 shown]
	v_fma_f16 v53, v53, 2.0, -v16
	v_fma_f16 v23, v59, 2.0, -v18
	;; [unrolled: 1-line block ×4, first 2 shown]
	v_sub_f16_e32 v10, v60, v10
	v_sub_f16_e32 v9, v17, v9
	;; [unrolled: 1-line block ×3, first 2 shown]
	v_fma_f16 v54, v54, 2.0, -v22
	v_sub_f16_e32 v13, v53, v13
	v_sub_f16_e32 v8, v23, v8
	;; [unrolled: 1-line block ×3, first 2 shown]
	v_add_f16_e32 v19, v18, v19
	v_fma_f16 v59, v60, 2.0, -v10
	v_fma_f16 v17, v17, 2.0, -v9
	;; [unrolled: 1-line block ×3, first 2 shown]
	v_lshrrev_b32_e32 v61, 16, v0
	v_fma_f16 v53, v53, 2.0, -v13
	v_fma_f16 v23, v23, 2.0, -v8
	;; [unrolled: 1-line block ×4, first 2 shown]
	v_sub_f16_e32 v17, v54, v17
	v_sub_f16_e32 v31, v59, v31
	;; [unrolled: 1-line block ×3, first 2 shown]
	v_add_f16_e32 v9, v10, v9
	v_mad_legacy_u16 v6, v6, 28, v7
	v_sub_f16_e32 v55, v0, v55
	v_fma_f16 v54, v54, 2.0, -v17
	v_fma_f16 v59, v59, 2.0, -v31
	;; [unrolled: 1-line block ×4, first 2 shown]
	v_sub_f16_e32 v2, v61, v2
	v_sub_f16_e32 v58, v24, v58
	;; [unrolled: 1-line block ×3, first 2 shown]
	v_pack_b32_f16 v11, v20, v11
	v_lshlrev_b32_e32 v157, 2, v6
	v_pack_b32_f16 v6, v53, v23
	v_pack_b32_f16 v7, v16, v18
	v_mad_legacy_u16 v1, v1, 28, v3
	v_fma_f16 v0, v0, 2.0, -v55
	v_fma_f16 v60, v61, 2.0, -v2
	;; [unrolled: 1-line block ×4, first 2 shown]
	ds_write2_b32 v146, v14, v11 offset0:14 offset1:21
	ds_write2_b32 v157, v6, v7 offset1:7
	v_pack_b32_f16 v6, v13, v8
	v_pack_b32_f16 v7, v15, v19
	v_lshlrev_b32_e32 v162, 2, v1
	v_pack_b32_f16 v1, v54, v59
	v_pack_b32_f16 v3, v22, v10
	v_sub_f16_e32 v24, v0, v24
	v_sub_f16_e32 v21, v60, v21
	;; [unrolled: 1-line block ×3, first 2 shown]
	v_add_f16_e32 v58, v2, v58
	ds_write2_b32 v157, v6, v7 offset0:14 offset1:21
	ds_write2_b32 v162, v1, v3 offset1:7
	v_pack_b32_f16 v1, v17, v31
	v_pack_b32_f16 v3, v56, v9
	v_fma_f16 v0, v0, 2.0, -v24
	v_fma_f16 v60, v60, 2.0, -v21
	;; [unrolled: 1-line block ×4, first 2 shown]
	ds_write2_b32 v162, v1, v3 offset0:14 offset1:21
	v_mad_legacy_u16 v1, v4, 28, v5
	v_lshlrev_b32_e32 v161, 2, v1
	v_pack_b32_f16 v0, v0, v60
	v_pack_b32_f16 v1, v55, v2
	ds_write2_b32 v161, v0, v1 offset1:7
	v_pack_b32_f16 v0, v24, v21
	v_pack_b32_f16 v1, v57, v58
	ds_write2_b32 v161, v0, v1 offset0:14 offset1:21
	v_mov_b32_e32 v0, 2
	v_lshrrev_b16_sdwa v0, v0, v124 dst_sel:DWORD dst_unused:UNUSED_PAD src0_sel:DWORD src1_sel:BYTE_0
	v_mul_lo_u16_e32 v13, 37, v0
	v_mov_b32_e32 v0, 28
	v_mul_lo_u16_sdwa v0, v13, v0 dst_sel:DWORD dst_unused:UNUSED_PAD src0_sel:BYTE_1 src1_sel:DWORD
	v_sub_u16_e32 v0, v124, v0
	v_and_b32_e32 v14, 0xff, v0
	v_mad_u64_u32 v[4:5], s[18:19], v14, 24, s[2:3]
	s_waitcnt lgkmcnt(0)
	s_barrier
	global_load_dwordx4 v[0:3], v[4:5], off offset:84
	global_load_dwordx2 v[72:73], v[4:5], off offset:100
	ds_read2_b32 v[23:24], v133 offset0:16 offset1:212
	ds_read2_b32 v[10:11], v131 offset0:32 offset1:228
	;; [unrolled: 1-line block ×5, first 2 shown]
	s_waitcnt lgkmcnt(4)
	v_lshrrev_b32_e32 v15, 16, v23
	s_waitcnt lgkmcnt(3)
	v_lshrrev_b32_e32 v16, 16, v10
	;; [unrolled: 2-line block ×4, first 2 shown]
	ds_read2_b32 v[53:54], v129 offset1:196
	s_waitcnt lgkmcnt(1)
	v_lshrrev_b32_e32 v19, 16, v4
	ds_read2_b32 v[55:56], v126 offset1:196
	v_mul_u32_u24_sdwa v13, v13, s16 dst_sel:DWORD dst_unused:UNUSED_PAD src0_sel:BYTE_1 src1_sel:DWORD
	v_add_lshl_u32 v152, v13, v14, 2
	s_waitcnt vmcnt(1)
	v_mul_f16_sdwa v21, v23, v0 dst_sel:DWORD dst_unused:UNUSED_PAD src0_sel:DWORD src1_sel:WORD_1
	v_mul_f16_sdwa v20, v15, v0 dst_sel:DWORD dst_unused:UNUSED_PAD src0_sel:DWORD src1_sel:WORD_1
	v_fma_f16 v15, v15, v0, v21
	v_mul_f16_sdwa v21, v16, v1 dst_sel:DWORD dst_unused:UNUSED_PAD src0_sel:DWORD src1_sel:WORD_1
	v_fma_f16 v21, v10, v1, -v21
	v_mul_f16_sdwa v10, v10, v1 dst_sel:DWORD dst_unused:UNUSED_PAD src0_sel:DWORD src1_sel:WORD_1
	v_fma_f16 v16, v16, v1, v10
	v_mul_f16_sdwa v10, v17, v2 dst_sel:DWORD dst_unused:UNUSED_PAD src0_sel:DWORD src1_sel:WORD_1
	v_fma_f16 v22, v8, v2, -v10
	v_mul_f16_sdwa v8, v8, v2 dst_sel:DWORD dst_unused:UNUSED_PAD src0_sel:DWORD src1_sel:WORD_1
	v_fma_f16 v17, v17, v2, v8
	s_waitcnt vmcnt(0)
	v_mul_f16_sdwa v8, v18, v72 dst_sel:DWORD dst_unused:UNUSED_PAD src0_sel:DWORD src1_sel:WORD_1
	v_fma_f16 v20, v23, v0, -v20
	v_fma_f16 v23, v6, v72, -v8
	v_mul_f16_sdwa v6, v6, v72 dst_sel:DWORD dst_unused:UNUSED_PAD src0_sel:DWORD src1_sel:WORD_1
	v_mul_f16_sdwa v8, v19, v73 dst_sel:DWORD dst_unused:UNUSED_PAD src0_sel:DWORD src1_sel:WORD_1
	v_fma_f16 v6, v18, v72, v6
	v_fma_f16 v18, v4, v73, -v8
	v_mul_f16_sdwa v4, v4, v73 dst_sel:DWORD dst_unused:UNUSED_PAD src0_sel:DWORD src1_sel:WORD_1
	v_fma_f16 v4, v19, v73, v4
	v_lshrrev_b16_e32 v8, 2, v12
	v_mul_u32_u24_e32 v8, 0x4925, v8
	v_add_f16_e32 v75, v15, v4
	v_sub_f16_e32 v76, v15, v4
	v_add_f16_e32 v87, v16, v6
	v_sub_f16_e32 v88, v16, v6
	s_waitcnt lgkmcnt(1)
	v_lshrrev_b32_e32 v4, 16, v53
	v_mul_f16_sdwa v6, v53, v3 dst_sel:DWORD dst_unused:UNUSED_PAD src0_sel:DWORD src1_sel:WORD_1
	v_lshrrev_b32_e32 v8, 17, v8
	v_fma_f16 v6, v4, v3, v6
	v_mul_f16_sdwa v4, v4, v3 dst_sel:DWORD dst_unused:UNUSED_PAD src0_sel:DWORD src1_sel:WORD_1
	v_mul_lo_u16_e32 v10, 28, v8
	v_add_f16_e32 v31, v20, v18
	v_add_f16_e32 v77, v21, v23
	v_fma_f16 v4, v53, v3, -v4
	v_sub_u16_e32 v10, v12, v10
	v_add_f16_e32 v12, v22, v4
	v_add_f16_e32 v13, v77, v31
	;; [unrolled: 1-line block ×6, first 2 shown]
	s_waitcnt lgkmcnt(0)
	v_add_f16_e32 v16, v55, v13
	v_fma_f16 v53, v13, s6, v16
	v_add_f16_sdwa v13, v55, v14 dst_sel:DWORD dst_unused:UNUSED_PAD src0_sel:WORD_1 src1_sel:DWORD
	v_sub_f16_e32 v74, v20, v18
	v_sub_f16_e32 v86, v21, v23
	;; [unrolled: 1-line block ×4, first 2 shown]
	v_fma_f16 v55, v14, s6, v13
	v_pack_b32_f16 v89, v16, v13
	v_sub_f16_e32 v13, v31, v12
	v_sub_f16_e32 v149, v12, v77
	v_sub_f16_e32 v12, v75, v15
	v_sub_f16_e32 v150, v15, v87
	v_add_f16_e32 v14, v4, v86
	v_sub_f16_e32 v15, v4, v86
	v_sub_f16_e32 v151, v74, v4
	v_add_f16_e32 v4, v6, v88
	v_mul_f16_e32 v156, 0x3a52, v13
	v_add_f16_e32 v155, v4, v76
	v_mul_f16_e32 v158, 0x3a52, v12
	v_fma_f16 v4, v149, s0, v156
	v_mul_f16_e32 v159, 0xb846, v15
	v_add_f16_e32 v163, v4, v53
	v_fma_f16 v4, v150, s0, v158
	v_add_f16_e32 v154, v14, v74
	v_add_f16_e32 v164, v4, v55
	v_fma_f16 v4, v151, s1, v159
	v_fma_f16 v165, v154, s14, v4
	v_mul_lo_u16_e32 v4, 24, v10
	v_add_co_u32_e32 v12, vcc, s2, v4
	v_addc_co_u32_e32 v13, vcc, 0, v27, vcc
	global_load_dwordx2 v[78:79], v[12:13], off offset:100
	global_load_dwordx4 v[20:23], v[12:13], off offset:84
	v_sub_f16_e32 v16, v6, v88
	v_sub_f16_e32 v153, v76, v6
	v_mul_f16_e32 v160, 0xb846, v16
	v_fma_f16 v4, v153, s1, v160
	v_fma_f16 v166, v155, s14, v4
	v_add_f16_e32 v4, v166, v163
	v_sub_f16_e32 v6, v164, v165
	v_pack_b32_f16 v167, v4, v6
	v_lshrrev_b16_e32 v4, 2, v25
	v_mul_u32_u24_e32 v6, 0x4925, v4
	v_lshrrev_b32_e32 v168, 17, v6
	v_mul_lo_u16_e32 v6, 28, v168
	v_sub_u16_e32 v169, v25, v6
	v_mul_lo_u16_e32 v6, 24, v169
	v_add_co_u32_e32 v12, vcc, s2, v6
	v_lshrrev_b16_e32 v6, 2, v26
	v_mul_u32_u24_e32 v14, 0x4925, v6
	v_lshrrev_b32_e32 v170, 17, v14
	v_mul_lo_u16_e32 v14, 28, v170
	v_sub_u16_e32 v171, v26, v14
	v_addc_co_u32_e32 v13, vcc, 0, v27, vcc
	v_mul_lo_u16_e32 v14, 24, v171
	v_add_co_u32_e32 v14, vcc, s2, v14
	v_addc_co_u32_e32 v15, vcc, 0, v27, vcc
	global_load_dwordx2 v[82:83], v[12:13], off offset:100
	global_load_dwordx4 v[16:19], v[12:13], off offset:84
	global_load_dwordx2 v[80:81], v[14:15], off offset:100
	s_nop 0
	global_load_dwordx4 v[12:15], v[14:15], off offset:84
	v_sub_f16_e32 v74, v86, v74
	v_sub_f16_e32 v76, v88, v76
	;; [unrolled: 1-line block ×4, first 2 shown]
	v_mul_f16_e32 v77, 0x2b26, v149
	v_mul_f16_e32 v86, 0x2b26, v150
	v_fma_f16 v87, v74, s15, -v159
	v_mul_f16_e32 v74, 0xbb00, v74
	v_fma_f16 v88, v76, s15, -v160
	v_mul_f16_e32 v76, 0xbb00, v76
	v_fma_f16 v77, v31, s7, -v77
	v_fma_f16 v31, v31, s12, -v156
	v_fma_f16 v86, v75, s7, -v86
	;; [unrolled: 1-line block ×3, first 2 shown]
	v_fma_f16 v74, v151, s13, v74
	v_fma_f16 v76, v153, s13, v76
	v_add_f16_e32 v77, v77, v53
	v_add_f16_e32 v31, v31, v53
	;; [unrolled: 1-line block ×4, first 2 shown]
	v_fma_f16 v74, v154, s14, v74
	v_fma_f16 v76, v155, s14, v76
	;; [unrolled: 1-line block ×4, first 2 shown]
	v_add_f16_e32 v87, v76, v31
	v_sub_f16_e32 v88, v55, v74
	ds_read2_b32 v[57:58], v113 offset0:8 offset1:204
	ds_read2_b32 v[59:60], v111 offset0:24 offset1:220
	;; [unrolled: 1-line block ×7, first 2 shown]
	s_waitcnt vmcnt(0) lgkmcnt(0)
	s_barrier
	ds_write2_b32 v152, v89, v167 offset1:28
	v_pack_b32_f16 v87, v87, v88
	v_sub_f16_e32 v88, v77, v86
	v_add_f16_e32 v89, v75, v53
	v_add_f16_e32 v77, v86, v77
	v_sub_f16_e32 v53, v53, v75
	v_sub_f16_e32 v31, v31, v76
	v_add_f16_e32 v55, v74, v55
	v_pack_b32_f16 v53, v77, v53
	v_pack_b32_f16 v31, v31, v55
	ds_write2_b32 v152, v53, v31 offset0:112 offset1:140
	v_lshrrev_b32_e32 v31, 16, v24
	v_pack_b32_f16 v88, v88, v89
	ds_write2_b32 v152, v87, v88 offset0:56 offset1:84
	v_add_f16_e32 v86, v165, v164
	v_mad_legacy_u16 v8, v8, s16, v10
	v_lshlrev_b32_e32 v165, 2, v8
	v_mul_u32_u24_e32 v6, 0xa73, v6
	v_lshrrev_b32_e32 v6, 17, v6
	v_mul_lo_u16_e32 v6, 0xc4, v6
	v_mul_f16_sdwa v53, v31, v20 dst_sel:DWORD dst_unused:UNUSED_PAD src0_sel:DWORD src1_sel:WORD_1
	v_fma_f16 v53, v24, v20, -v53
	v_mul_f16_sdwa v24, v24, v20 dst_sel:DWORD dst_unused:UNUSED_PAD src0_sel:DWORD src1_sel:WORD_1
	v_fma_f16 v24, v31, v20, v24
	v_lshrrev_b32_e32 v31, 16, v11
	v_mul_f16_sdwa v55, v31, v21 dst_sel:DWORD dst_unused:UNUSED_PAD src0_sel:DWORD src1_sel:WORD_1
	v_fma_f16 v55, v11, v21, -v55
	v_mul_f16_sdwa v11, v11, v21 dst_sel:DWORD dst_unused:UNUSED_PAD src0_sel:DWORD src1_sel:WORD_1
	v_fma_f16 v11, v31, v21, v11
	v_lshrrev_b32_e32 v31, 16, v9
	;; [unrolled: 5-line block ×5, first 2 shown]
	v_mul_f16_sdwa v77, v54, v79 dst_sel:DWORD dst_unused:UNUSED_PAD src0_sel:DWORD src1_sel:WORD_1
	v_fma_f16 v77, v5, v79, -v77
	v_mul_f16_sdwa v5, v5, v79 dst_sel:DWORD dst_unused:UNUSED_PAD src0_sel:DWORD src1_sel:WORD_1
	v_fma_f16 v5, v54, v79, v5
	v_add_f16_e32 v87, v53, v77
	v_sub_f16_e32 v53, v53, v77
	v_add_f16_e32 v77, v24, v5
	v_sub_f16_e32 v5, v24, v5
	;; [unrolled: 2-line block ×6, first 2 shown]
	v_add_f16_e32 v31, v24, v87
	v_add_f16_e32 v88, v76, v77
	v_sub_f16_e32 v54, v163, v166
	v_add_f16_e32 v31, v11, v31
	v_add_f16_e32 v88, v75, v88
	;; [unrolled: 1-line block ×3, first 2 shown]
	v_add_f16_sdwa v56, v56, v88 dst_sel:DWORD dst_unused:UNUSED_PAD src0_sel:WORD_1 src1_sel:DWORD
	v_pack_b32_f16 v54, v54, v86
	ds_write_b32 v152, v54 offset:672
	v_fma_f16 v10, v31, s6, v89
	v_fma_f16 v31, v88, s6, v56
	v_pack_b32_f16 v54, v89, v56
	v_sub_f16_e32 v56, v87, v11
	v_sub_f16_e32 v86, v77, v75
	;; [unrolled: 1-line block ×6, first 2 shown]
	v_add_f16_e32 v88, v74, v55
	v_sub_f16_e32 v74, v53, v74
	v_add_f16_e32 v149, v9, v7
	v_sub_f16_e32 v9, v5, v9
	v_mul_f16_e32 v56, 0x3a52, v56
	v_mul_f16_e32 v86, 0x3a52, v86
	;; [unrolled: 1-line block ×4, first 2 shown]
	v_add_f16_e32 v88, v88, v53
	v_add_f16_e32 v149, v149, v5
	v_fma_f16 v151, v11, s0, v56
	v_fma_f16 v153, v75, s0, v86
	;; [unrolled: 1-line block ×4, first 2 shown]
	v_add_f16_e32 v151, v151, v10
	v_add_f16_e32 v153, v153, v31
	v_fma_f16 v154, v88, s14, v154
	v_fma_f16 v155, v149, s14, v155
	v_add_f16_e32 v156, v155, v151
	v_sub_f16_e32 v158, v153, v154
	v_pack_b32_f16 v156, v156, v158
	v_sub_f16_e32 v53, v55, v53
	v_sub_f16_e32 v5, v7, v5
	ds_write2_b32 v165, v54, v156 offset1:28
	v_sub_f16_e32 v8, v24, v87
	v_sub_f16_e32 v24, v76, v77
	v_mul_f16_e32 v7, 0x2b26, v11
	v_mul_f16_e32 v11, 0x2b26, v75
	v_fma_f16 v54, v53, s15, -v89
	v_mul_f16_e32 v53, 0xbb00, v53
	v_fma_f16 v55, v5, s15, -v150
	v_mul_f16_e32 v5, 0xbb00, v5
	v_fma_f16 v7, v8, s7, -v7
	v_fma_f16 v8, v8, s12, -v56
	v_fma_f16 v11, v24, s7, -v11
	;; [unrolled: 1-line block ×3, first 2 shown]
	v_fma_f16 v53, v74, s13, v53
	v_fma_f16 v5, v9, s13, v5
	v_add_f16_e32 v7, v7, v10
	v_add_f16_e32 v8, v8, v10
	;; [unrolled: 1-line block ×3, first 2 shown]
	v_fma_f16 v24, v88, s14, v53
	v_fma_f16 v5, v149, s14, v5
	v_add_f16_e32 v9, v11, v31
	v_fma_f16 v11, v88, s14, v54
	v_fma_f16 v31, v149, s14, v55
	v_add_f16_e32 v53, v5, v8
	v_sub_f16_e32 v54, v10, v24
	v_pack_b32_f16 v53, v53, v54
	v_sub_f16_e32 v54, v7, v31
	v_add_f16_e32 v55, v11, v9
	v_add_f16_e32 v7, v31, v7
	v_sub_f16_e32 v9, v9, v11
	v_sub_f16_e32 v5, v8, v5
	v_add_f16_e32 v8, v24, v10
	v_pack_b32_f16 v7, v7, v9
	v_pack_b32_f16 v5, v5, v8
	v_lshrrev_b32_e32 v8, 16, v59
	v_mul_f16_sdwa v9, v59, v16 dst_sel:DWORD dst_unused:UNUSED_PAD src0_sel:DWORD src1_sel:WORD_1
	v_lshrrev_b32_e32 v10, 16, v69
	v_mul_f16_sdwa v11, v69, v83 dst_sel:DWORD dst_unused:UNUSED_PAD src0_sel:DWORD src1_sel:WORD_1
	v_fma_f16 v9, v8, v16, v9
	v_mul_f16_sdwa v8, v8, v16 dst_sel:DWORD dst_unused:UNUSED_PAD src0_sel:DWORD src1_sel:WORD_1
	v_fma_f16 v11, v10, v83, v11
	v_mul_f16_sdwa v10, v10, v83 dst_sel:DWORD dst_unused:UNUSED_PAD src0_sel:DWORD src1_sel:WORD_1
	v_pack_b32_f16 v54, v54, v55
	v_fma_f16 v8, v59, v16, -v8
	v_fma_f16 v10, v69, v83, -v10
	ds_write2_b32 v165, v53, v54 offset0:56 offset1:84
	v_add_f16_e32 v24, v8, v10
	v_sub_f16_e32 v8, v8, v10
	v_add_f16_e32 v10, v9, v11
	v_sub_f16_e32 v9, v9, v11
	v_lshrrev_b32_e32 v11, 16, v61
	v_mul_f16_sdwa v31, v61, v17 dst_sel:DWORD dst_unused:UNUSED_PAD src0_sel:DWORD src1_sel:WORD_1
	v_lshrrev_b32_e32 v53, 16, v67
	v_mul_f16_sdwa v54, v67, v82 dst_sel:DWORD dst_unused:UNUSED_PAD src0_sel:DWORD src1_sel:WORD_1
	v_fma_f16 v31, v11, v17, v31
	v_mul_f16_sdwa v11, v11, v17 dst_sel:DWORD dst_unused:UNUSED_PAD src0_sel:DWORD src1_sel:WORD_1
	v_fma_f16 v54, v53, v82, v54
	v_mul_f16_sdwa v53, v53, v82 dst_sel:DWORD dst_unused:UNUSED_PAD src0_sel:DWORD src1_sel:WORD_1
	v_fma_f16 v11, v61, v17, -v11
	v_fma_f16 v53, v67, v82, -v53
	v_add_f16_e32 v55, v11, v53
	v_sub_f16_e32 v11, v11, v53
	v_add_f16_e32 v53, v31, v54
	v_sub_f16_e32 v31, v31, v54
	v_lshrrev_b32_e32 v54, 16, v63
	v_mul_f16_sdwa v56, v63, v18 dst_sel:DWORD dst_unused:UNUSED_PAD src0_sel:DWORD src1_sel:WORD_1
	v_lshrrev_b32_e32 v59, 16, v65
	v_mul_f16_sdwa v61, v65, v19 dst_sel:DWORD dst_unused:UNUSED_PAD src0_sel:DWORD src1_sel:WORD_1
	v_fma_f16 v56, v54, v18, v56
	v_mul_f16_sdwa v54, v54, v18 dst_sel:DWORD dst_unused:UNUSED_PAD src0_sel:DWORD src1_sel:WORD_1
	v_fma_f16 v61, v59, v19, v61
	v_mul_f16_sdwa v59, v59, v19 dst_sel:DWORD dst_unused:UNUSED_PAD src0_sel:DWORD src1_sel:WORD_1
	ds_write2_b32 v165, v7, v5 offset0:112 offset1:140
	v_sub_f16_e32 v5, v151, v155
	v_add_f16_e32 v7, v154, v153
	v_fma_f16 v54, v63, v18, -v54
	v_fma_f16 v59, v65, v19, -v59
	v_add_f16_e32 v63, v54, v59
	v_sub_f16_e32 v54, v59, v54
	v_add_f16_e32 v59, v56, v61
	v_sub_f16_e32 v56, v61, v56
	v_pack_b32_f16 v5, v5, v7
	v_add_f16_e32 v7, v55, v24
	v_add_f16_e32 v61, v53, v10
	;; [unrolled: 1-line block ×5, first 2 shown]
	v_add_f16_sdwa v57, v57, v61 dst_sel:DWORD dst_unused:UNUSED_PAD src0_sel:WORD_1 src1_sel:DWORD
	v_add_f16_e32 v69, v54, v11
	v_sub_f16_e32 v74, v54, v11
	v_add_f16_e32 v75, v56, v31
	v_sub_f16_e32 v76, v56, v31
	ds_write_b32 v165, v5 offset:672
	v_mad_legacy_u16 v5, v168, s16, v169
	v_fma_f16 v7, v7, s6, v65
	v_fma_f16 v61, v61, s6, v57
	v_pack_b32_f16 v57, v65, v57
	v_sub_f16_e32 v65, v24, v63
	v_sub_f16_e32 v63, v63, v55
	;; [unrolled: 1-line block ×6, first 2 shown]
	v_add_f16_e32 v69, v69, v8
	v_add_f16_e32 v75, v75, v9
	v_mul_f16_e32 v74, 0xb846, v74
	v_mul_f16_e32 v76, 0xb846, v76
	v_sub_f16_e32 v8, v11, v8
	v_sub_f16_e32 v9, v31, v9
	v_mul_f16_e32 v65, 0x3a52, v65
	v_mul_f16_e32 v67, 0x3a52, v67
	v_lshlrev_b32_e32 v151, 2, v5
	v_sub_f16_e32 v5, v55, v24
	v_sub_f16_e32 v10, v53, v10
	v_mul_f16_e32 v11, 0x2b26, v63
	v_mul_f16_e32 v24, 0x2b26, v59
	v_fma_f16 v31, v8, s15, -v74
	v_mul_f16_e32 v8, 0xbb00, v8
	v_fma_f16 v53, v9, s15, -v76
	;; [unrolled: 2-line block ×3, first 2 shown]
	v_fma_f16 v5, v5, s12, -v65
	v_fma_f16 v24, v10, s7, -v24
	;; [unrolled: 1-line block ×3, first 2 shown]
	v_fma_f16 v8, v54, s13, v8
	v_fma_f16 v9, v56, s13, v9
	;; [unrolled: 1-line block ×3, first 2 shown]
	v_add_f16_e32 v5, v5, v7
	v_add_f16_e32 v10, v10, v61
	v_fma_f16 v8, v69, s14, v8
	v_fma_f16 v9, v75, s14, v9
	v_add_f16_e32 v77, v77, v7
	v_fma_f16 v87, v54, s1, v74
	v_add_f16_e32 v11, v11, v7
	v_add_f16_e32 v7, v24, v61
	v_fma_f16 v24, v69, s14, v31
	v_fma_f16 v31, v75, s14, v53
	v_add_f16_e32 v53, v9, v5
	v_sub_f16_e32 v54, v10, v8
	v_pack_b32_f16 v53, v53, v54
	v_sub_f16_e32 v54, v11, v31
	v_add_f16_e32 v55, v24, v7
	v_add_f16_e32 v11, v31, v11
	v_sub_f16_e32 v7, v7, v24
	v_sub_f16_e32 v5, v5, v9
	v_add_f16_e32 v8, v8, v10
	v_pack_b32_f16 v7, v11, v7
	v_pack_b32_f16 v5, v5, v8
	ds_write2_b32 v151, v7, v5 offset0:112 offset1:140
	v_lshrrev_b32_e32 v5, 16, v60
	v_mul_f16_sdwa v8, v60, v12 dst_sel:DWORD dst_unused:UNUSED_PAD src0_sel:DWORD src1_sel:WORD_1
	v_mul_f16_sdwa v7, v5, v12 dst_sel:DWORD dst_unused:UNUSED_PAD src0_sel:DWORD src1_sel:WORD_1
	v_fma_f16 v5, v5, v12, v8
	v_lshrrev_b32_e32 v8, 16, v62
	v_mul_f16_sdwa v10, v62, v13 dst_sel:DWORD dst_unused:UNUSED_PAD src0_sel:DWORD src1_sel:WORD_1
	v_fma_f16 v86, v59, s0, v67
	v_fma_f16 v88, v56, s1, v76
	v_pack_b32_f16 v54, v54, v55
	v_mul_f16_sdwa v9, v8, v13 dst_sel:DWORD dst_unused:UNUSED_PAD src0_sel:DWORD src1_sel:WORD_1
	v_fma_f16 v8, v8, v13, v10
	v_lshrrev_b32_e32 v10, 16, v64
	v_mul_f16_sdwa v24, v64, v14 dst_sel:DWORD dst_unused:UNUSED_PAD src0_sel:DWORD src1_sel:WORD_1
	v_add_f16_e32 v86, v86, v61
	v_fma_f16 v87, v69, s14, v87
	v_fma_f16 v88, v75, s14, v88
	ds_write2_b32 v151, v53, v54 offset0:56 offset1:84
	v_mul_f16_sdwa v11, v10, v14 dst_sel:DWORD dst_unused:UNUSED_PAD src0_sel:DWORD src1_sel:WORD_1
	v_fma_f16 v10, v10, v14, v24
	v_lshrrev_b32_e32 v24, 16, v66
	v_mul_f16_sdwa v53, v66, v15 dst_sel:DWORD dst_unused:UNUSED_PAD src0_sel:DWORD src1_sel:WORD_1
	v_add_f16_e32 v89, v88, v77
	v_sub_f16_e32 v149, v86, v87
	v_mul_f16_sdwa v31, v24, v15 dst_sel:DWORD dst_unused:UNUSED_PAD src0_sel:DWORD src1_sel:WORD_1
	v_fma_f16 v24, v24, v15, v53
	v_lshrrev_b32_e32 v53, 16, v68
	v_mul_f16_sdwa v55, v68, v80 dst_sel:DWORD dst_unused:UNUSED_PAD src0_sel:DWORD src1_sel:WORD_1
	v_pack_b32_f16 v89, v89, v149
	v_mul_f16_sdwa v54, v53, v80 dst_sel:DWORD dst_unused:UNUSED_PAD src0_sel:DWORD src1_sel:WORD_1
	v_fma_f16 v53, v53, v80, v55
	v_lshrrev_b32_e32 v55, 16, v70
	ds_write2_b32 v151, v57, v89 offset1:28
	v_mul_f16_sdwa v56, v55, v81 dst_sel:DWORD dst_unused:UNUSED_PAD src0_sel:DWORD src1_sel:WORD_1
	v_mul_f16_sdwa v57, v70, v81 dst_sel:DWORD dst_unused:UNUSED_PAD src0_sel:DWORD src1_sel:WORD_1
	v_fma_f16 v7, v60, v12, -v7
	v_fma_f16 v9, v62, v13, -v9
	;; [unrolled: 1-line block ×4, first 2 shown]
	v_fma_f16 v55, v55, v81, v57
	v_fma_f16 v11, v64, v14, -v11
	v_fma_f16 v31, v66, v15, -v31
	v_add_f16_e32 v60, v7, v56
	v_sub_f16_e32 v7, v7, v56
	v_add_f16_e32 v56, v5, v55
	v_sub_f16_e32 v5, v5, v55
	;; [unrolled: 2-line block ×6, first 2 shown]
	v_add_f16_e32 v24, v55, v60
	v_add_f16_e32 v61, v54, v56
	;; [unrolled: 1-line block ×4, first 2 shown]
	v_sub_f16_e32 v57, v77, v88
	v_add_f16_e32 v59, v87, v86
	v_add_f16_e32 v62, v58, v24
	v_add_f16_sdwa v58, v58, v61 dst_sel:DWORD dst_unused:UNUSED_PAD src0_sel:WORD_1 src1_sel:DWORD
	v_pack_b32_f16 v57, v57, v59
	v_fma_f16 v24, v24, s6, v62
	v_fma_f16 v59, v61, s6, v58
	v_pack_b32_f16 v58, v62, v58
	v_sub_f16_e32 v62, v56, v31
	v_sub_f16_e32 v61, v60, v53
	;; [unrolled: 1-line block ×3, first 2 shown]
	v_add_f16_e32 v63, v11, v9
	v_sub_f16_e32 v64, v11, v9
	v_mul_f16_e32 v62, 0x3a52, v62
	v_sub_f16_e32 v53, v53, v55
	v_sub_f16_e32 v11, v7, v11
	v_add_f16_e32 v65, v10, v8
	v_sub_f16_e32 v66, v10, v8
	v_add_f16_e32 v63, v63, v7
	v_mul_f16_e32 v61, 0x3a52, v61
	v_mul_f16_e32 v64, 0xb846, v64
	v_fma_f16 v68, v31, s0, v62
	v_sub_f16_e32 v54, v54, v56
	v_sub_f16_e32 v7, v9, v7
	v_mul_f16_e32 v31, 0x2b26, v31
	v_sub_f16_e32 v10, v5, v10
	v_add_f16_e32 v65, v65, v5
	v_mul_f16_e32 v66, 0xb846, v66
	v_fma_f16 v67, v53, s0, v61
	v_sub_f16_e32 v5, v8, v5
	v_mul_f16_e32 v8, 0x2b26, v53
	v_fma_f16 v31, v54, s7, -v31
	v_fma_f16 v53, v54, s12, -v62
	v_fma_f16 v54, v7, s15, -v64
	v_mul_f16_e32 v7, 0xbb00, v7
	v_fma_f16 v69, v11, s1, v64
	v_sub_f16_e32 v55, v55, v60
	v_fma_f16 v7, v11, s13, v7
	v_fma_f16 v11, v5, s15, -v66
	v_mul_f16_e32 v5, 0xbb00, v5
	v_fma_f16 v8, v55, s7, -v8
	v_fma_f16 v9, v55, s12, -v61
	v_fma_f16 v5, v10, s13, v5
	v_add_f16_e32 v67, v67, v24
	v_add_f16_e32 v8, v8, v24
	;; [unrolled: 1-line block ×4, first 2 shown]
	v_fma_f16 v7, v63, s14, v7
	v_fma_f16 v5, v65, s14, v5
	;; [unrolled: 1-line block ×3, first 2 shown]
	v_add_f16_e32 v10, v31, v59
	v_fma_f16 v31, v63, s14, v54
	v_fma_f16 v11, v65, s14, v11
	v_add_f16_e32 v53, v5, v9
	v_sub_f16_e32 v54, v24, v7
	ds_write_b32 v151, v57 offset:672
	v_mad_legacy_u16 v57, v170, s16, v171
	v_pack_b32_f16 v53, v53, v54
	v_sub_f16_e32 v54, v8, v11
	v_add_f16_e32 v55, v31, v10
	v_add_f16_e32 v8, v11, v8
	v_sub_f16_e32 v10, v10, v31
	v_sub_f16_e32 v5, v9, v5
	v_add_f16_e32 v7, v7, v24
	v_add_f16_e32 v68, v68, v59
	v_fma_f16 v69, v63, s14, v69
	v_fma_f16 v70, v65, s14, v70
	v_lshlrev_b32_e32 v158, 2, v57
	v_pack_b32_f16 v8, v8, v10
	v_pack_b32_f16 v5, v5, v7
	ds_write2_b32 v158, v8, v5 offset0:112 offset1:140
	v_sub_f16_e32 v5, v67, v70
	v_add_f16_e32 v7, v69, v68
	v_pack_b32_f16 v5, v5, v7
	v_mad_u64_u32 v[7:8], s[16:17], v124, 12, s[2:3]
	v_add_f16_e32 v74, v70, v67
	v_sub_f16_e32 v75, v68, v69
	v_pack_b32_f16 v74, v74, v75
	v_pack_b32_f16 v54, v54, v55
	ds_write2_b32 v158, v58, v74 offset1:28
	ds_write2_b32 v158, v53, v54 offset0:56 offset1:84
	ds_write_b32 v158, v5 offset:672
	s_waitcnt lgkmcnt(0)
	s_barrier
	global_load_dwordx3 v[53:55], v[7:8], off offset:756
	v_mul_u32_u24_e32 v4, 0xa73, v4
	v_sub_u16_e32 v150, v26, v6
	v_lshrrev_b16_e32 v6, 2, v28
	v_lshrrev_b32_e32 v4, 17, v4
	v_mul_u32_u24_e32 v6, 0xa73, v6
	v_mul_lo_u16_e32 v4, 0xc4, v4
	v_lshrrev_b32_e32 v6, 17, v6
	v_sub_u16_e32 v149, v25, v4
	v_mul_lo_u16_e32 v6, 0xc4, v6
	v_mul_lo_u16_e32 v4, 12, v149
	v_sub_u16_e32 v155, v28, v6
	v_lshrrev_b16_e32 v6, 2, v29
	v_add_co_u32_e32 v4, vcc, s2, v4
	v_mul_u32_u24_e32 v6, 0xa73, v6
	ds_read2_b32 v[24:25], v111 offset0:24 offset1:220
	v_addc_co_u32_e32 v5, vcc, 0, v27, vcc
	global_load_dwordx3 v[56:58], v[4:5], off offset:756
	v_lshrrev_b32_e32 v6, 17, v6
	v_mul_lo_u16_e32 v6, 0xc4, v6
	ds_read2_b32 v[4:5], v107 offset0:56 offset1:252
	v_sub_u16_e32 v159, v29, v6
	v_lshrrev_b16_e32 v6, 2, v30
	v_mul_u32_u24_e32 v6, 0xa73, v6
	v_lshrrev_b32_e32 v6, 17, v6
	s_waitcnt lgkmcnt(1)
	v_lshrrev_b32_e32 v28, 16, v25
	v_mul_lo_u16_e32 v6, 0xc4, v6
	v_sub_u16_e32 v166, v30, v6
	s_waitcnt lgkmcnt(0)
	v_lshrrev_b32_e32 v30, 16, v4
	v_mul_lo_u16_e32 v6, 12, v150
	v_add_co_u32_e32 v6, vcc, s2, v6
	v_addc_co_u32_e32 v7, vcc, 0, v27, vcc
	v_mul_lo_u16_e32 v8, 12, v155
	v_add_co_u32_e32 v8, vcc, s2, v8
	v_addc_co_u32_e32 v9, vcc, 0, v27, vcc
	;; [unrolled: 3-line block ×4, first 2 shown]
	s_waitcnt vmcnt(1)
	v_mul_f16_sdwa v29, v25, v53 dst_sel:DWORD dst_unused:UNUSED_PAD src0_sel:DWORD src1_sel:WORD_1
	v_fma_f16 v59, v28, v53, v29
	v_mul_f16_sdwa v28, v28, v53 dst_sel:DWORD dst_unused:UNUSED_PAD src0_sel:DWORD src1_sel:WORD_1
	v_fma_f16 v25, v25, v53, -v28
	ds_read2_b32 v[28:29], v128 offset0:16 offset1:212
	v_mul_f16_sdwa v31, v4, v54 dst_sel:DWORD dst_unused:UNUSED_PAD src0_sel:DWORD src1_sel:WORD_1
	v_fma_f16 v60, v30, v54, v31
	v_mul_f16_sdwa v30, v30, v54 dst_sel:DWORD dst_unused:UNUSED_PAD src0_sel:DWORD src1_sel:WORD_1
	v_fma_f16 v4, v4, v54, -v30
	ds_read2_b32 v[30:31], v126 offset1:196
	s_waitcnt lgkmcnt(1)
	v_lshrrev_b32_e32 v61, 16, v29
	v_mul_f16_sdwa v62, v29, v55 dst_sel:DWORD dst_unused:UNUSED_PAD src0_sel:DWORD src1_sel:WORD_1
	v_fma_f16 v62, v61, v55, v62
	v_mul_f16_sdwa v61, v61, v55 dst_sel:DWORD dst_unused:UNUSED_PAD src0_sel:DWORD src1_sel:WORD_1
	v_fma_f16 v29, v29, v55, -v61
	s_waitcnt lgkmcnt(0)
	v_lshrrev_b32_e32 v61, 16, v30
	v_sub_f16_e32 v4, v30, v4
	v_sub_f16_e32 v60, v61, v60
	;; [unrolled: 1-line block ×4, first 2 shown]
	v_fma_f16 v61, v61, 2.0, -v60
	v_fma_f16 v25, v25, 2.0, -v29
	;; [unrolled: 1-line block ×4, first 2 shown]
	v_sub_f16_e32 v153, v30, v25
	v_sub_f16_e32 v154, v61, v59
	v_fma_f16 v25, v30, 2.0, -v153
	v_fma_f16 v30, v61, 2.0, -v154
	v_add_f16_e32 v167, v60, v29
	v_pack_b32_f16 v156, v25, v30
	v_sub_f16_e32 v160, v4, v62
	v_fma_f16 v25, v60, 2.0, -v167
	global_load_dwordx3 v[68:70], v[6:7], off offset:756
	global_load_dwordx3 v[65:67], v[8:9], off offset:756
	;; [unrolled: 1-line block ×4, first 2 shown]
	v_fma_f16 v4, v4, 2.0, -v160
	v_pack_b32_f16 v4, v4, v25
	ds_read2_b32 v[6:7], v131 offset0:32 offset1:228
	ds_read2_b32 v[8:9], v105 offset0:24 offset1:220
	;; [unrolled: 1-line block ×3, first 2 shown]
	ds_read2_b32 v[25:26], v129 offset1:196
	ds_read2_b32 v[29:30], v109 offset0:40 offset1:236
	ds_read2_b32 v[74:75], v127 offset0:32 offset1:228
	;; [unrolled: 1-line block ×6, first 2 shown]
	s_waitcnt vmcnt(0) lgkmcnt(0)
	s_barrier
	ds_write2_b32 v126, v156, v4 offset1:196
	v_pack_b32_f16 v4, v153, v154
	v_pack_b32_f16 v27, v160, v167
	v_lshrrev_b32_e32 v153, 16, v6
	v_mul_f16_sdwa v154, v6, v53 dst_sel:DWORD dst_unused:UNUSED_PAD src0_sel:DWORD src1_sel:WORD_1
	ds_write2_b32 v113, v4, v27 offset0:8 offset1:204
	v_lshrrev_b32_e32 v4, 16, v5
	v_fma_f16 v154, v153, v53, v154
	v_mul_f16_sdwa v153, v153, v53 dst_sel:DWORD dst_unused:UNUSED_PAD src0_sel:DWORD src1_sel:WORD_1
	v_mul_f16_sdwa v27, v4, v54 dst_sel:DWORD dst_unused:UNUSED_PAD src0_sel:DWORD src1_sel:WORD_1
	v_fma_f16 v6, v6, v53, -v153
	v_lshrrev_b32_e32 v153, 16, v8
	v_mul_f16_sdwa v156, v8, v55 dst_sel:DWORD dst_unused:UNUSED_PAD src0_sel:DWORD src1_sel:WORD_1
	v_fma_f16 v27, v5, v54, -v27
	v_mul_f16_sdwa v5, v5, v54 dst_sel:DWORD dst_unused:UNUSED_PAD src0_sel:DWORD src1_sel:WORD_1
	v_fma_f16 v156, v153, v55, v156
	v_mul_f16_sdwa v153, v153, v55 dst_sel:DWORD dst_unused:UNUSED_PAD src0_sel:DWORD src1_sel:WORD_1
	v_fma_f16 v4, v4, v54, v5
	v_sub_f16_e32 v5, v31, v27
	v_lshrrev_b32_e32 v27, 16, v31
	v_fma_f16 v8, v8, v55, -v153
	v_sub_f16_e32 v4, v27, v4
	v_sub_f16_e32 v8, v6, v8
	;; [unrolled: 1-line block ×3, first 2 shown]
	v_fma_f16 v31, v31, 2.0, -v5
	v_fma_f16 v27, v27, 2.0, -v4
	;; [unrolled: 1-line block ×4, first 2 shown]
	v_sub_f16_e32 v6, v31, v6
	v_sub_f16_e32 v154, v27, v154
	v_fma_f16 v31, v31, 2.0, -v6
	v_fma_f16 v27, v27, 2.0, -v154
	v_pack_b32_f16 v27, v31, v27
	v_sub_f16_e32 v31, v5, v153
	v_add_f16_e32 v8, v4, v8
	v_fma_f16 v5, v5, 2.0, -v31
	v_fma_f16 v4, v4, 2.0, -v8
	v_pack_b32_f16 v4, v5, v4
	ds_write2_b32 v133, v27, v4 offset0:16 offset1:212
	v_pack_b32_f16 v4, v6, v154
	v_pack_b32_f16 v5, v31, v8
	ds_write2_b32 v111, v4, v5 offset0:24 offset1:220
	v_lshrrev_b32_e32 v4, 16, v7
	v_mul_f16_sdwa v6, v7, v56 dst_sel:DWORD dst_unused:UNUSED_PAD src0_sel:DWORD src1_sel:WORD_1
	v_mul_f16_sdwa v5, v4, v56 dst_sel:DWORD dst_unused:UNUSED_PAD src0_sel:DWORD src1_sel:WORD_1
	v_fma_f16 v4, v4, v56, v6
	v_lshrrev_b32_e32 v6, 16, v9
	v_fma_f16 v5, v7, v56, -v5
	v_mul_f16_sdwa v7, v6, v58 dst_sel:DWORD dst_unused:UNUSED_PAD src0_sel:DWORD src1_sel:WORD_1
	v_mul_f16_sdwa v8, v9, v58 dst_sel:DWORD dst_unused:UNUSED_PAD src0_sel:DWORD src1_sel:WORD_1
	v_fma_f16 v7, v9, v58, -v7
	v_fma_f16 v6, v6, v58, v8
	v_lshrrev_b32_e32 v8, 16, v25
	v_mul_f16_sdwa v9, v25, v57 dst_sel:DWORD dst_unused:UNUSED_PAD src0_sel:DWORD src1_sel:WORD_1
	v_fma_f16 v9, v8, v57, v9
	v_mul_f16_sdwa v8, v8, v57 dst_sel:DWORD dst_unused:UNUSED_PAD src0_sel:DWORD src1_sel:WORD_1
	v_fma_f16 v8, v25, v57, -v8
	v_lshrrev_b32_e32 v25, 16, v10
	v_sub_f16_e32 v8, v10, v8
	v_sub_f16_e32 v9, v25, v9
	;; [unrolled: 1-line block ×4, first 2 shown]
	v_fma_f16 v5, v5, 2.0, -v7
	v_fma_f16 v4, v4, 2.0, -v6
	v_sub_f16_e32 v6, v8, v6
	v_add_f16_e32 v7, v9, v7
	v_fma_f16 v25, v25, 2.0, -v9
	v_fma_f16 v10, v10, 2.0, -v8
	;; [unrolled: 1-line block ×4, first 2 shown]
	v_sub_f16_e32 v5, v10, v5
	v_sub_f16_e32 v4, v25, v4
	v_pack_b32_f16 v8, v8, v9
	v_lshlrev_b32_e32 v9, 2, v149
	v_fma_f16 v10, v10, 2.0, -v5
	v_fma_f16 v25, v25, 2.0, -v4
	v_pack_b32_f16 v4, v5, v4
	v_pack_b32_f16 v5, v6, v7
	v_add_u32_e32 v153, 0x1e00, v9
	ds_write2_b32 v153, v4, v5 offset0:40 offset1:236
	v_lshrrev_b32_e32 v4, 16, v26
	v_mul_f16_sdwa v5, v4, v69 dst_sel:DWORD dst_unused:UNUSED_PAD src0_sel:DWORD src1_sel:WORD_1
	v_fma_f16 v5, v26, v69, -v5
	v_pack_b32_f16 v10, v10, v25
	v_add_u32_e32 v154, 0x1800, v9
	v_mul_f16_sdwa v6, v26, v69 dst_sel:DWORD dst_unused:UNUSED_PAD src0_sel:DWORD src1_sel:WORD_1
	v_sub_f16_e32 v5, v11, v5
	ds_write2_b32 v154, v10, v8 offset0:32 offset1:228
	v_fma_f16 v4, v4, v69, v6
	v_lshrrev_b32_e32 v6, 16, v11
	v_fma_f16 v7, v11, 2.0, -v5
	v_lshrrev_b32_e32 v8, 16, v29
	v_mul_f16_sdwa v9, v29, v68 dst_sel:DWORD dst_unused:UNUSED_PAD src0_sel:DWORD src1_sel:WORD_1
	v_lshrrev_b32_e32 v10, 16, v74
	v_mul_f16_sdwa v11, v74, v70 dst_sel:DWORD dst_unused:UNUSED_PAD src0_sel:DWORD src1_sel:WORD_1
	v_fma_f16 v9, v8, v68, v9
	v_mul_f16_sdwa v8, v8, v68 dst_sel:DWORD dst_unused:UNUSED_PAD src0_sel:DWORD src1_sel:WORD_1
	v_fma_f16 v11, v10, v70, v11
	v_mul_f16_sdwa v10, v10, v70 dst_sel:DWORD dst_unused:UNUSED_PAD src0_sel:DWORD src1_sel:WORD_1
	v_fma_f16 v8, v29, v68, -v8
	v_fma_f16 v10, v74, v70, -v10
	v_sub_f16_e32 v4, v6, v4
	v_sub_f16_e32 v10, v8, v10
	;; [unrolled: 1-line block ×3, first 2 shown]
	v_fma_f16 v6, v6, 2.0, -v4
	v_fma_f16 v8, v8, 2.0, -v10
	;; [unrolled: 1-line block ×3, first 2 shown]
	v_sub_f16_e32 v8, v7, v8
	v_sub_f16_e32 v9, v6, v9
	v_fma_f16 v7, v7, 2.0, -v8
	v_fma_f16 v6, v6, 2.0, -v9
	v_pack_b32_f16 v6, v7, v6
	v_sub_f16_e32 v7, v5, v11
	v_add_f16_e32 v10, v4, v10
	v_fma_f16 v5, v5, 2.0, -v7
	v_fma_f16 v4, v4, 2.0, -v10
	v_pack_b32_f16 v4, v5, v4
	v_lshlrev_b32_e32 v5, 2, v150
	v_add_u32_e32 v149, 0x2400, v5
	ds_write2_b32 v149, v6, v4 offset0:48 offset1:244
	v_pack_b32_f16 v4, v8, v9
	v_pack_b32_f16 v6, v7, v10
	v_add_u32_e32 v150, 0x2a00, v5
	ds_write2_b32 v150, v4, v6 offset0:56 offset1:252
	v_lshrrev_b32_e32 v4, 16, v30
	v_mul_f16_sdwa v6, v30, v65 dst_sel:DWORD dst_unused:UNUSED_PAD src0_sel:DWORD src1_sel:WORD_1
	v_mul_f16_sdwa v5, v4, v65 dst_sel:DWORD dst_unused:UNUSED_PAD src0_sel:DWORD src1_sel:WORD_1
	v_fma_f16 v4, v4, v65, v6
	v_lshrrev_b32_e32 v6, 16, v75
	v_mul_f16_sdwa v8, v75, v67 dst_sel:DWORD dst_unused:UNUSED_PAD src0_sel:DWORD src1_sel:WORD_1
	v_mul_f16_sdwa v7, v6, v67 dst_sel:DWORD dst_unused:UNUSED_PAD src0_sel:DWORD src1_sel:WORD_1
	v_fma_f16 v6, v6, v67, v8
	v_lshrrev_b32_e32 v8, 16, v86
	v_mul_f16_sdwa v9, v86, v66 dst_sel:DWORD dst_unused:UNUSED_PAD src0_sel:DWORD src1_sel:WORD_1
	v_fma_f16 v9, v8, v66, v9
	v_mul_f16_sdwa v8, v8, v66 dst_sel:DWORD dst_unused:UNUSED_PAD src0_sel:DWORD src1_sel:WORD_1
	v_fma_f16 v5, v30, v65, -v5
	v_fma_f16 v7, v75, v67, -v7
	;; [unrolled: 1-line block ×3, first 2 shown]
	v_lshrrev_b32_e32 v10, 16, v76
	v_sub_f16_e32 v8, v76, v8
	v_sub_f16_e32 v9, v10, v9
	;; [unrolled: 1-line block ×4, first 2 shown]
	v_fma_f16 v10, v10, 2.0, -v9
	v_fma_f16 v5, v5, 2.0, -v7
	;; [unrolled: 1-line block ×4, first 2 shown]
	v_sub_f16_e32 v6, v8, v6
	v_add_f16_e32 v7, v9, v7
	v_sub_f16_e32 v5, v11, v5
	v_sub_f16_e32 v4, v10, v4
	v_fma_f16 v8, v8, 2.0, -v6
	v_fma_f16 v9, v9, 2.0, -v7
	;; [unrolled: 1-line block ×4, first 2 shown]
	v_pack_b32_f16 v8, v8, v9
	v_lshlrev_b32_e32 v9, 2, v155
	v_pack_b32_f16 v10, v11, v10
	v_add_u32_e32 v155, 0x3100, v9
	v_pack_b32_f16 v4, v5, v4
	v_pack_b32_f16 v5, v6, v7
	v_add_u32_e32 v156, 0x3700, v9
	ds_write2_b32 v155, v10, v8 offset1:196
	ds_write2_b32 v156, v4, v5 offset0:8 offset1:204
	v_lshrrev_b32_e32 v4, 16, v87
	v_lshrrev_b32_e32 v8, 16, v88
	v_mul_f16_sdwa v9, v88, v62 dst_sel:DWORD dst_unused:UNUSED_PAD src0_sel:DWORD src1_sel:WORD_1
	v_lshrrev_b32_e32 v10, 16, v163
	v_mul_f16_sdwa v11, v163, v64 dst_sel:DWORD dst_unused:UNUSED_PAD src0_sel:DWORD src1_sel:WORD_1
	v_mul_f16_sdwa v5, v4, v63 dst_sel:DWORD dst_unused:UNUSED_PAD src0_sel:DWORD src1_sel:WORD_1
	v_mul_f16_sdwa v6, v87, v63 dst_sel:DWORD dst_unused:UNUSED_PAD src0_sel:DWORD src1_sel:WORD_1
	v_fma_f16 v9, v8, v62, v9
	v_mul_f16_sdwa v8, v8, v62 dst_sel:DWORD dst_unused:UNUSED_PAD src0_sel:DWORD src1_sel:WORD_1
	v_fma_f16 v11, v10, v64, v11
	v_mul_f16_sdwa v10, v10, v64 dst_sel:DWORD dst_unused:UNUSED_PAD src0_sel:DWORD src1_sel:WORD_1
	v_fma_f16 v5, v87, v63, -v5
	v_fma_f16 v4, v4, v63, v6
	v_lshrrev_b32_e32 v6, 16, v77
	v_fma_f16 v8, v88, v62, -v8
	v_fma_f16 v10, v163, v64, -v10
	v_sub_f16_e32 v5, v77, v5
	v_sub_f16_e32 v4, v6, v4
	;; [unrolled: 1-line block ×4, first 2 shown]
	v_fma_f16 v7, v77, 2.0, -v5
	v_fma_f16 v6, v6, 2.0, -v4
	;; [unrolled: 1-line block ×4, first 2 shown]
	v_sub_f16_e32 v8, v7, v8
	v_sub_f16_e32 v9, v6, v9
	v_fma_f16 v7, v7, 2.0, -v8
	v_fma_f16 v6, v6, 2.0, -v9
	v_pack_b32_f16 v6, v7, v6
	v_sub_f16_e32 v7, v5, v11
	v_add_f16_e32 v10, v4, v10
	v_fma_f16 v5, v5, 2.0, -v7
	v_fma_f16 v4, v4, 2.0, -v10
	v_pack_b32_f16 v4, v5, v4
	v_lshlrev_b32_e32 v5, 2, v159
	v_add_u32_e32 v159, 0x3d00, v5
	ds_write2_b32 v159, v6, v4 offset0:16 offset1:212
	v_pack_b32_f16 v4, v8, v9
	v_pack_b32_f16 v6, v7, v10
	v_add_u32_e32 v160, 0x4300, v5
	ds_write2_b32 v160, v4, v6 offset0:24 offset1:220
	v_lshrrev_b32_e32 v4, 16, v89
	v_mul_f16_sdwa v6, v89, v59 dst_sel:DWORD dst_unused:UNUSED_PAD src0_sel:DWORD src1_sel:WORD_1
	v_mul_f16_sdwa v5, v4, v59 dst_sel:DWORD dst_unused:UNUSED_PAD src0_sel:DWORD src1_sel:WORD_1
	v_fma_f16 v4, v4, v59, v6
	v_lshrrev_b32_e32 v6, 16, v28
	v_mul_f16_sdwa v8, v28, v60 dst_sel:DWORD dst_unused:UNUSED_PAD src0_sel:DWORD src1_sel:WORD_1
	v_mul_f16_sdwa v7, v6, v60 dst_sel:DWORD dst_unused:UNUSED_PAD src0_sel:DWORD src1_sel:WORD_1
	v_fma_f16 v6, v6, v60, v8
	v_lshrrev_b32_e32 v8, 16, v164
	v_mul_f16_sdwa v9, v8, v61 dst_sel:DWORD dst_unused:UNUSED_PAD src0_sel:DWORD src1_sel:WORD_1
	v_mul_f16_sdwa v10, v164, v61 dst_sel:DWORD dst_unused:UNUSED_PAD src0_sel:DWORD src1_sel:WORD_1
	v_fma_f16 v5, v89, v59, -v5
	v_fma_f16 v7, v28, v60, -v7
	;; [unrolled: 1-line block ×3, first 2 shown]
	v_fma_f16 v8, v8, v61, v10
	v_lshrrev_b32_e32 v10, 16, v24
	v_sub_f16_e32 v7, v24, v7
	v_sub_f16_e32 v6, v10, v6
	;; [unrolled: 1-line block ×4, first 2 shown]
	v_fma_f16 v11, v24, 2.0, -v7
	v_fma_f16 v10, v10, 2.0, -v6
	;; [unrolled: 1-line block ×4, first 2 shown]
	v_sub_f16_e32 v8, v7, v8
	v_add_f16_e32 v9, v6, v9
	v_mad_u64_u32 v[26:27], s[2:3], v124, 24, s[2:3]
	v_sub_f16_e32 v5, v11, v5
	v_sub_f16_e32 v4, v10, v4
	v_fma_f16 v7, v7, 2.0, -v8
	v_fma_f16 v6, v6, 2.0, -v9
	;; [unrolled: 1-line block ×4, first 2 shown]
	v_pack_b32_f16 v6, v7, v6
	v_lshlrev_b32_e32 v7, 2, v166
	v_pack_b32_f16 v10, v11, v10
	v_add_u32_e32 v163, 0x4900, v7
	v_pack_b32_f16 v4, v5, v4
	v_pack_b32_f16 v5, v8, v9
	v_add_u32_e32 v164, 0x4f00, v7
	ds_write2_b32 v163, v10, v6 offset0:32 offset1:228
	ds_write2_b32 v164, v4, v5 offset0:40 offset1:236
	s_waitcnt lgkmcnt(0)
	s_barrier
	global_load_dwordx4 v[8:11], v[26:27], off offset:3108
	s_movk_i32 s2, 0x1260
	v_add_co_u32_e32 v24, vcc, s2, v26
	v_addc_co_u32_e32 v25, vcc, 0, v27, vcc
	global_load_dwordx4 v[4:7], v[24:25], off offset:3108
	global_load_dwordx2 v[76:77], v[26:27], off offset:3124
	global_load_dwordx2 v[74:75], v[24:25], off offset:3124
	ds_read2_b32 v[30:31], v133 offset0:16 offset1:212
	s_movk_i32 s2, 0x24c0
	v_add_co_u32_e32 v24, vcc, s2, v26
	v_addc_co_u32_e32 v25, vcc, 0, v27, vcc
	s_movk_i32 s2, 0x3720
	v_add_co_u32_e32 v28, vcc, s2, v26
	v_addc_co_u32_e32 v29, vcc, 0, v27, vcc
	s_waitcnt lgkmcnt(0)
	v_lshrrev_b32_e32 v26, 16, v30
	v_lshrrev_b32_e32 v86, 16, v31
	s_movk_i32 s2, 0x55c0
	s_mov_b32 s3, 0xbb00
	s_waitcnt vmcnt(3)
	v_mul_f16_sdwa v27, v30, v8 dst_sel:DWORD dst_unused:UNUSED_PAD src0_sel:DWORD src1_sel:WORD_1
	v_fma_f16 v170, v26, v8, v27
	v_mul_f16_sdwa v26, v26, v8 dst_sel:DWORD dst_unused:UNUSED_PAD src0_sel:DWORD src1_sel:WORD_1
	v_fma_f16 v171, v30, v8, -v26
	ds_read2_b32 v[26:27], v131 offset0:32 offset1:228
	s_waitcnt vmcnt(2)
	v_mul_f16_sdwa v30, v86, v4 dst_sel:DWORD dst_unused:UNUSED_PAD src0_sel:DWORD src1_sel:WORD_1
	v_fma_f16 v30, v31, v4, -v30
	v_mul_f16_sdwa v31, v31, v4 dst_sel:DWORD dst_unused:UNUSED_PAD src0_sel:DWORD src1_sel:WORD_1
	v_fma_f16 v31, v86, v4, v31
	s_waitcnt lgkmcnt(0)
	v_lshrrev_b32_e32 v86, 16, v26
	v_mul_f16_sdwa v87, v26, v9 dst_sel:DWORD dst_unused:UNUSED_PAD src0_sel:DWORD src1_sel:WORD_1
	v_fma_f16 v172, v86, v9, v87
	v_mul_f16_sdwa v86, v86, v9 dst_sel:DWORD dst_unused:UNUSED_PAD src0_sel:DWORD src1_sel:WORD_1
	v_fma_f16 v173, v26, v9, -v86
	ds_read2_b32 v[86:87], v130 offset0:48 offset1:244
	v_lshrrev_b32_e32 v26, 16, v27
	v_mul_f16_sdwa v88, v26, v5 dst_sel:DWORD dst_unused:UNUSED_PAD src0_sel:DWORD src1_sel:WORD_1
	v_fma_f16 v88, v27, v5, -v88
	v_mul_f16_sdwa v27, v27, v5 dst_sel:DWORD dst_unused:UNUSED_PAD src0_sel:DWORD src1_sel:WORD_1
	v_fma_f16 v89, v26, v5, v27
	s_waitcnt lgkmcnt(0)
	v_lshrrev_b32_e32 v26, 16, v86
	v_mul_f16_sdwa v27, v86, v10 dst_sel:DWORD dst_unused:UNUSED_PAD src0_sel:DWORD src1_sel:WORD_1
	v_fma_f16 v174, v26, v10, v27
	v_mul_f16_sdwa v26, v26, v10 dst_sel:DWORD dst_unused:UNUSED_PAD src0_sel:DWORD src1_sel:WORD_1
	v_fma_f16 v175, v86, v10, -v26
	ds_read2_b32 v[26:27], v129 offset1:196
	v_lshrrev_b32_e32 v86, 16, v87
	v_mul_f16_sdwa v166, v86, v6 dst_sel:DWORD dst_unused:UNUSED_PAD src0_sel:DWORD src1_sel:WORD_1
	v_fma_f16 v166, v87, v6, -v166
	v_mul_f16_sdwa v87, v87, v6 dst_sel:DWORD dst_unused:UNUSED_PAD src0_sel:DWORD src1_sel:WORD_1
	v_fma_f16 v167, v86, v6, v87
	s_waitcnt lgkmcnt(0)
	v_lshrrev_b32_e32 v86, 16, v26
	v_mul_f16_sdwa v87, v26, v11 dst_sel:DWORD dst_unused:UNUSED_PAD src0_sel:DWORD src1_sel:WORD_1
	v_fma_f16 v176, v86, v11, v87
	v_mul_f16_sdwa v86, v86, v11 dst_sel:DWORD dst_unused:UNUSED_PAD src0_sel:DWORD src1_sel:WORD_1
	v_fma_f16 v177, v26, v11, -v86
	ds_read2_b32 v[86:87], v128 offset0:16 offset1:212
	v_lshrrev_b32_e32 v26, 16, v27
	v_mul_f16_sdwa v168, v26, v7 dst_sel:DWORD dst_unused:UNUSED_PAD src0_sel:DWORD src1_sel:WORD_1
	v_fma_f16 v168, v27, v7, -v168
	v_mul_f16_sdwa v27, v27, v7 dst_sel:DWORD dst_unused:UNUSED_PAD src0_sel:DWORD src1_sel:WORD_1
	v_fma_f16 v169, v26, v7, v27
	s_waitcnt lgkmcnt(0)
	v_lshrrev_b32_e32 v26, 16, v86
	s_waitcnt vmcnt(1)
	v_mul_f16_sdwa v27, v86, v76 dst_sel:DWORD dst_unused:UNUSED_PAD src0_sel:DWORD src1_sel:WORD_1
	v_fma_f16 v178, v26, v76, v27
	v_mul_f16_sdwa v26, v26, v76 dst_sel:DWORD dst_unused:UNUSED_PAD src0_sel:DWORD src1_sel:WORD_1
	v_fma_f16 v86, v86, v76, -v26
	ds_read2_b32 v[26:27], v127 offset0:32 offset1:228
	v_lshrrev_b32_e32 v179, 16, v87
	s_waitcnt vmcnt(0)
	v_mul_f16_sdwa v180, v179, v74 dst_sel:DWORD dst_unused:UNUSED_PAD src0_sel:DWORD src1_sel:WORD_1
	v_fma_f16 v184, v87, v74, -v180
	v_mul_f16_sdwa v87, v87, v74 dst_sel:DWORD dst_unused:UNUSED_PAD src0_sel:DWORD src1_sel:WORD_1
	v_fma_f16 v185, v179, v74, v87
	s_waitcnt lgkmcnt(0)
	v_lshrrev_b32_e32 v87, 16, v26
	v_mul_f16_sdwa v179, v26, v77 dst_sel:DWORD dst_unused:UNUSED_PAD src0_sel:DWORD src1_sel:WORD_1
	v_fma_f16 v179, v87, v77, v179
	v_mul_f16_sdwa v87, v87, v77 dst_sel:DWORD dst_unused:UNUSED_PAD src0_sel:DWORD src1_sel:WORD_1
	v_fma_f16 v26, v26, v77, -v87
	v_lshrrev_b32_e32 v87, 16, v27
	v_mul_f16_sdwa v180, v87, v75 dst_sel:DWORD dst_unused:UNUSED_PAD src0_sel:DWORD src1_sel:WORD_1
	v_fma_f16 v186, v27, v75, -v180
	v_mul_f16_sdwa v27, v27, v75 dst_sel:DWORD dst_unused:UNUSED_PAD src0_sel:DWORD src1_sel:WORD_1
	v_fma_f16 v187, v87, v75, v27
	v_add_f16_e32 v27, v171, v26
	v_sub_f16_e32 v26, v171, v26
	v_add_f16_e32 v171, v173, v86
	v_add_f16_e32 v87, v170, v179
	v_sub_f16_e32 v86, v173, v86
	v_add_f16_e32 v173, v172, v178
	v_sub_f16_e32 v172, v172, v178
	;; [unrolled: 2-line block ×5, first 2 shown]
	v_sub_f16_e32 v179, v171, v27
	v_sub_f16_e32 v27, v27, v178
	v_sub_f16_e32 v171, v178, v171
	v_add_f16_e32 v176, v178, v176
	v_add_f16_e32 v178, v173, v87
	v_sub_f16_e32 v180, v173, v87
	v_sub_f16_e32 v87, v87, v177
	v_sub_f16_e32 v173, v177, v173
	v_add_f16_e32 v177, v177, v178
	v_add_f16_e32 v178, v175, v86
	;; [unrolled: 5-line block ×3, first 2 shown]
	v_add_f16_e32 v183, v26, v170
	v_mul_f16_e32 v26, 0x3a52, v27
	v_mul_f16_e32 v27, 0x2b26, v171
	v_sub_f16_e32 v182, v174, v172
	v_sub_f16_e32 v174, v170, v174
	;; [unrolled: 1-line block ×3, first 2 shown]
	v_fma_f16 v188, v171, s0, v26
	v_fma_f16 v189, v179, s7, -v27
	v_fma_f16 v179, v179, s12, -v26
	v_mul_f16_e32 v26, 0x3a52, v87
	v_mul_f16_e32 v27, 0x2b26, v173
	v_mul_f16_e32 v170, 0xb846, v181
	v_fma_f16 v173, v173, s0, v26
	v_fma_f16 v190, v180, s7, -v27
	v_fma_f16 v180, v180, s12, -v26
	v_mul_f16_e32 v171, 0xbb00, v86
	v_fma_f16 v181, v86, s15, -v170
	global_load_dwordx2 v[86:87], v[24:25], off offset:3124
	s_nop 0
	global_load_dwordx4 v[24:27], v[24:25], off offset:3108
	v_fma_f16 v191, v175, s1, v170
	v_fma_f16 v175, v175, s13, v171
	ds_read2_b32 v[170:171], v126 offset1:196
	v_mul_f16_e32 v182, 0xb846, v182
	v_mul_f16_e32 v192, 0xbb00, v172
	v_fma_f16 v172, v172, s15, -v182
	v_fma_f16 v182, v174, s1, v182
	v_fma_f16 v174, v174, s13, v192
	s_waitcnt lgkmcnt(0)
	v_add_f16_e32 v192, v170, v176
	v_add_f16_sdwa v170, v170, v177 dst_sel:DWORD dst_unused:UNUSED_PAD src0_sel:WORD_1 src1_sel:DWORD
	v_fma_f16 v176, v176, s6, v192
	v_fma_f16 v177, v177, s6, v170
	v_add_f16_e32 v188, v188, v176
	v_add_f16_e32 v189, v189, v176
	v_add_f16_e32 v176, v179, v176
	v_add_f16_e32 v173, v173, v177
	v_add_f16_e32 v179, v190, v177
	v_add_f16_e32 v177, v180, v177
	v_fma_f16 v180, v178, s14, v191
	v_fma_f16 v181, v178, s14, v181
	;; [unrolled: 1-line block ×6, first 2 shown]
	v_add_f16_e32 v183, v181, v179
	v_sub_f16_e32 v179, v179, v181
	v_add_f16_e32 v181, v174, v176
	v_sub_f16_e32 v174, v176, v174
	v_sub_f16_e32 v176, v177, v175
	v_add_f16_e32 v175, v175, v177
	v_add_f16_e32 v177, v178, v188
	v_sub_f16_e32 v178, v188, v178
	v_sub_f16_e32 v188, v173, v180
	v_pack_b32_f16 v192, v192, v170
	v_pack_b32_f16 v170, v177, v188
	v_sub_f16_e32 v182, v189, v172
	ds_write_b32 v126, v170 offset:3136
	v_pack_b32_f16 v170, v181, v176
	v_add_f16_e32 v172, v172, v189
	ds_write_b32 v126, v170 offset:6272
	v_pack_b32_f16 v170, v182, v183
	v_add_f16_e32 v189, v30, v186
	v_add_f16_e32 v190, v88, v184
	ds_write_b32 v126, v170 offset:9408
	v_pack_b32_f16 v170, v172, v179
	v_add_f16_e32 v173, v180, v173
	v_add_f16_e32 v191, v166, v168
	;; [unrolled: 1-line block ×5, first 2 shown]
	ds_write_b32 v126, v170 offset:12544
	v_pack_b32_f16 v170, v174, v175
	v_add_f16_e32 v193, v191, v180
	v_add_f16_e32 v196, v167, v169
	v_add_f16_e32 v180, v195, v194
	ds_write_b32 v126, v170 offset:15680
	v_pack_b32_f16 v170, v178, v173
	v_add_f16_e32 v197, v196, v180
	ds_write_b32 v126, v170 offset:18816
	v_add_f16_e32 v198, v171, v193
	v_add_f16_sdwa v199, v171, v197 dst_sel:DWORD dst_unused:UNUSED_PAD src0_sel:WORD_1 src1_sel:DWORD
	ds_read2_b32 v[170:171], v113 offset0:8 offset1:204
	ds_read2_b32 v[172:173], v111 offset0:24 offset1:220
	;; [unrolled: 1-line block ×7, first 2 shown]
	v_sub_f16_e32 v88, v88, v184
	v_sub_f16_e32 v89, v89, v185
	s_waitcnt lgkmcnt(5)
	v_lshrrev_b32_e32 v184, 16, v172
	v_sub_f16_e32 v30, v30, v186
	v_sub_f16_e32 v31, v31, v187
	v_pack_b32_f16 v188, v198, v199
	ds_write2_b32 v126, v192, v188 offset1:196
	v_sub_f16_e32 v166, v168, v166
	v_fma_f16 v168, v193, s6, v198
	v_sub_f16_e32 v167, v169, v167
	v_fma_f16 v169, v197, s6, v199
	v_sub_f16_e32 v197, v194, v196
	v_sub_f16_e32 v199, v166, v88
	;; [unrolled: 1-line block ×4, first 2 shown]
	v_add_f16_e32 v198, v166, v88
	s_waitcnt vmcnt(1) lgkmcnt(1)
	v_mul_f16_sdwa v186, v182, v87 dst_sel:DWORD dst_unused:UNUSED_PAD src0_sel:DWORD src1_sel:WORD_1
	s_waitcnt vmcnt(0)
	v_mul_f16_sdwa v185, v172, v24 dst_sel:DWORD dst_unused:UNUSED_PAD src0_sel:DWORD src1_sel:WORD_1
	v_fma_f16 v185, v184, v24, v185
	v_mul_f16_sdwa v184, v184, v24 dst_sel:DWORD dst_unused:UNUSED_PAD src0_sel:DWORD src1_sel:WORD_1
	v_fma_f16 v172, v172, v24, -v184
	v_lshrrev_b32_e32 v184, 16, v182
	v_fma_f16 v186, v184, v87, v186
	v_mul_f16_sdwa v184, v184, v87 dst_sel:DWORD dst_unused:UNUSED_PAD src0_sel:DWORD src1_sel:WORD_1
	v_fma_f16 v182, v182, v87, -v184
	v_add_f16_e32 v184, v172, v182
	v_sub_f16_e32 v172, v172, v182
	v_add_f16_e32 v182, v185, v186
	v_sub_f16_e32 v185, v185, v186
	v_lshrrev_b32_e32 v186, 16, v174
	v_mul_f16_sdwa v187, v174, v25 dst_sel:DWORD dst_unused:UNUSED_PAD src0_sel:DWORD src1_sel:WORD_1
	v_fma_f16 v187, v186, v25, v187
	v_mul_f16_sdwa v186, v186, v25 dst_sel:DWORD dst_unused:UNUSED_PAD src0_sel:DWORD src1_sel:WORD_1
	v_fma_f16 v174, v174, v25, -v186
	v_lshrrev_b32_e32 v186, 16, v180
	v_mul_f16_sdwa v188, v180, v86 dst_sel:DWORD dst_unused:UNUSED_PAD src0_sel:DWORD src1_sel:WORD_1
	v_fma_f16 v188, v186, v86, v188
	v_mul_f16_sdwa v186, v186, v86 dst_sel:DWORD dst_unused:UNUSED_PAD src0_sel:DWORD src1_sel:WORD_1
	v_fma_f16 v180, v180, v86, -v186
	v_add_f16_e32 v186, v174, v180
	v_sub_f16_e32 v174, v174, v180
	v_add_f16_e32 v180, v187, v188
	v_sub_f16_e32 v187, v187, v188
	v_lshrrev_b32_e32 v188, 16, v176
	v_mul_f16_sdwa v192, v176, v26 dst_sel:DWORD dst_unused:UNUSED_PAD src0_sel:DWORD src1_sel:WORD_1
	v_fma_f16 v192, v188, v26, v192
	v_mul_f16_sdwa v188, v188, v26 dst_sel:DWORD dst_unused:UNUSED_PAD src0_sel:DWORD src1_sel:WORD_1
	v_fma_f16 v176, v176, v26, -v188
	v_lshrrev_b32_e32 v188, 16, v178
	v_mul_f16_sdwa v193, v178, v27 dst_sel:DWORD dst_unused:UNUSED_PAD src0_sel:DWORD src1_sel:WORD_1
	v_fma_f16 v193, v188, v27, v193
	v_mul_f16_sdwa v188, v188, v27 dst_sel:DWORD dst_unused:UNUSED_PAD src0_sel:DWORD src1_sel:WORD_1
	v_fma_f16 v178, v178, v27, -v188
	v_add_f16_e32 v188, v176, v178
	v_sub_f16_e32 v176, v178, v176
	v_add_f16_e32 v178, v192, v193
	v_sub_f16_e32 v192, v193, v192
	v_sub_f16_e32 v193, v189, v191
	v_sub_f16_e32 v191, v191, v190
	v_sub_f16_e32 v166, v30, v166
	v_add_f16_e32 v200, v167, v89
	v_sub_f16_e32 v167, v31, v167
	v_mul_f16_e32 v193, 0x3a52, v193
	v_mul_f16_e32 v197, 0x3a52, v197
	;; [unrolled: 1-line block ×4, first 2 shown]
	v_add_f16_e32 v198, v198, v30
	v_add_f16_e32 v200, v200, v31
	v_fma_f16 v202, v191, s0, v193
	v_fma_f16 v203, v196, s0, v197
	;; [unrolled: 1-line block ×4, first 2 shown]
	v_add_f16_e32 v202, v202, v168
	v_add_f16_e32 v203, v203, v169
	v_fma_f16 v204, v198, s14, v204
	v_fma_f16 v205, v200, s14, v205
	v_add_f16_e32 v206, v205, v202
	v_sub_f16_e32 v207, v203, v204
	v_pack_b32_f16 v206, v206, v207
	v_add_f16_e32 v207, v186, v184
	v_add_f16_e32 v209, v180, v182
	;; [unrolled: 1-line block ×3, first 2 shown]
	v_sub_f16_e32 v208, v184, v188
	v_add_f16_e32 v209, v178, v209
	v_sub_f16_e32 v210, v182, v178
	v_sub_f16_e32 v212, v176, v174
	;; [unrolled: 1-line block ×5, first 2 shown]
	v_add_f16_e32 v211, v176, v174
	v_sub_f16_e32 v176, v172, v176
	v_add_f16_e32 v213, v192, v187
	v_sub_f16_e32 v192, v185, v192
	v_mul_f16_e32 v208, 0x3a52, v208
	v_mul_f16_e32 v210, 0x3a52, v210
	v_mul_f16_e32 v212, 0xb846, v212
	v_mul_f16_e32 v214, 0xb846, v214
	v_add_f16_e32 v215, v170, v207
	v_add_f16_sdwa v170, v170, v209 dst_sel:DWORD dst_unused:UNUSED_PAD src0_sel:WORD_1 src1_sel:DWORD
	v_add_f16_e32 v211, v211, v172
	v_add_f16_e32 v213, v213, v185
	v_fma_f16 v207, v207, s6, v215
	v_fma_f16 v209, v209, s6, v170
	;; [unrolled: 1-line block ×6, first 2 shown]
	v_add_f16_e32 v216, v216, v207
	v_add_f16_e32 v217, v217, v209
	v_fma_f16 v218, v211, s14, v218
	v_fma_f16 v219, v213, s14, v219
	v_add_f16_e32 v220, v219, v216
	v_sub_f16_e32 v221, v217, v218
	v_pack_b32_f16 v220, v220, v221
	ds_write2_b32 v132, v206, v220 offset0:20 offset1:216
	v_sub_f16_e32 v189, v190, v189
	v_sub_f16_e32 v190, v195, v194
	;; [unrolled: 1-line block ×4, first 2 shown]
	global_load_dwordx2 v[88:89], v[28:29], off offset:3124
	s_nop 0
	global_load_dwordx4 v[28:31], v[28:29], off offset:3108
	v_mul_f16_e32 v206, 0xbb00, v194
	v_fma_f16 v166, v166, s13, v206
	v_mul_f16_e32 v206, 0xbb00, v195
	v_sub_f16_e32 v172, v174, v172
	v_fma_f16 v167, v167, s13, v206
	v_sub_f16_e32 v184, v186, v184
	v_sub_f16_e32 v180, v180, v182
	;; [unrolled: 1-line block ×3, first 2 shown]
	v_mul_f16_e32 v182, 0xbb00, v172
	v_fma_f16 v185, v189, s12, -v193
	v_fma_f16 v186, v190, s12, -v197
	v_fma_f16 v176, v176, s13, v182
	v_mul_f16_e32 v182, 0xbb00, v174
	v_add_f16_e32 v185, v185, v168
	v_add_f16_e32 v186, v186, v169
	v_fma_f16 v166, v198, s14, v166
	v_fma_f16 v167, v200, s14, v167
	;; [unrolled: 1-line block ×3, first 2 shown]
	v_add_f16_e32 v187, v167, v185
	v_sub_f16_e32 v192, v186, v166
	v_pack_b32_f16 v187, v187, v192
	v_fma_f16 v192, v184, s12, -v208
	v_fma_f16 v193, v180, s12, -v210
	v_add_f16_e32 v192, v192, v207
	v_add_f16_e32 v193, v193, v209
	v_fma_f16 v176, v211, s14, v176
	v_fma_f16 v182, v213, s14, v182
	v_add_f16_e32 v197, v182, v192
	v_sub_f16_e32 v206, v193, v176
	v_pack_b32_f16 v197, v197, v206
	ds_write2_b32 v134, v187, v197 offset0:36 offset1:232
	v_mul_f16_e32 v187, 0x2b26, v191
	v_fma_f16 v187, v189, s7, -v187
	v_mul_f16_e32 v189, 0x2b26, v196
	v_fma_f16 v189, v190, s7, -v189
	v_fma_f16 v190, v194, s15, -v199
	;; [unrolled: 1-line block ×3, first 2 shown]
	v_mul_f16_e32 v188, 0x2b26, v188
	v_mul_f16_e32 v178, 0x2b26, v178
	v_add_f16_e32 v168, v187, v168
	v_add_f16_e32 v169, v189, v169
	v_fma_f16 v187, v198, s14, v190
	v_fma_f16 v189, v200, s14, v191
	v_fma_f16 v184, v184, s7, -v188
	v_fma_f16 v178, v180, s7, -v178
	;; [unrolled: 1-line block ×4, first 2 shown]
	v_add_f16_e32 v180, v184, v207
	v_add_f16_e32 v178, v178, v209
	v_fma_f16 v172, v211, s14, v172
	v_fma_f16 v174, v213, s14, v174
	v_sub_f16_e32 v184, v168, v189
	v_add_f16_e32 v188, v187, v169
	v_pack_b32_f16 v184, v184, v188
	v_sub_f16_e32 v188, v180, v174
	v_add_f16_e32 v190, v172, v178
	v_add_f16_e32 v168, v189, v168
	v_sub_f16_e32 v169, v169, v187
	v_add_f16_e32 v174, v174, v180
	v_sub_f16_e32 v172, v178, v172
	v_pack_b32_f16 v168, v168, v169
	v_pack_b32_f16 v169, v174, v172
	ds_write2_b32 v136, v168, v169 offset0:4 offset1:200
	v_sub_f16_e32 v167, v185, v167
	v_add_f16_e32 v166, v166, v186
	v_sub_f16_e32 v168, v192, v182
	v_add_f16_e32 v169, v176, v193
	v_pack_b32_f16 v166, v167, v166
	v_pack_b32_f16 v167, v168, v169
	ds_write2_b32 v137, v166, v167 offset0:20 offset1:216
	v_sub_f16_e32 v166, v202, v205
	v_add_f16_e32 v167, v204, v203
	v_sub_f16_e32 v168, v216, v219
	v_add_f16_e32 v169, v218, v217
	v_pack_b32_f16 v166, v166, v167
	v_pack_b32_f16 v167, v168, v169
	ds_write2_b32 v138, v166, v167 offset0:36 offset1:232
	v_lshrrev_b32_e32 v166, 16, v173
	s_waitcnt vmcnt(1)
	v_mul_f16_sdwa v178, v181, v88 dst_sel:DWORD dst_unused:UNUSED_PAD src0_sel:DWORD src1_sel:WORD_1
	s_waitcnt vmcnt(0)
	v_mul_f16_sdwa v168, v173, v28 dst_sel:DWORD dst_unused:UNUSED_PAD src0_sel:DWORD src1_sel:WORD_1
	v_mul_f16_sdwa v167, v166, v28 dst_sel:DWORD dst_unused:UNUSED_PAD src0_sel:DWORD src1_sel:WORD_1
	v_fma_f16 v166, v166, v28, v168
	v_lshrrev_b32_e32 v168, 16, v175
	v_mul_f16_sdwa v172, v175, v29 dst_sel:DWORD dst_unused:UNUSED_PAD src0_sel:DWORD src1_sel:WORD_1
	v_mul_f16_sdwa v169, v168, v29 dst_sel:DWORD dst_unused:UNUSED_PAD src0_sel:DWORD src1_sel:WORD_1
	v_fma_f16 v168, v168, v29, v172
	v_lshrrev_b32_e32 v172, 16, v177
	v_mul_f16_sdwa v174, v177, v30 dst_sel:DWORD dst_unused:UNUSED_PAD src0_sel:DWORD src1_sel:WORD_1
	v_fma_f16 v167, v173, v28, -v167
	v_mul_f16_sdwa v173, v172, v30 dst_sel:DWORD dst_unused:UNUSED_PAD src0_sel:DWORD src1_sel:WORD_1
	v_fma_f16 v172, v172, v30, v174
	v_lshrrev_b32_e32 v174, 16, v179
	v_mul_f16_sdwa v176, v179, v31 dst_sel:DWORD dst_unused:UNUSED_PAD src0_sel:DWORD src1_sel:WORD_1
	v_fma_f16 v169, v175, v29, -v169
	v_mul_f16_sdwa v175, v174, v31 dst_sel:DWORD dst_unused:UNUSED_PAD src0_sel:DWORD src1_sel:WORD_1
	v_fma_f16 v174, v174, v31, v176
	v_lshrrev_b32_e32 v176, 16, v181
	v_fma_f16 v173, v177, v30, -v173
	v_mul_f16_sdwa v177, v176, v88 dst_sel:DWORD dst_unused:UNUSED_PAD src0_sel:DWORD src1_sel:WORD_1
	v_fma_f16 v176, v176, v88, v178
	v_lshrrev_b32_e32 v178, 16, v183
	v_fma_f16 v175, v179, v31, -v175
	v_mul_f16_sdwa v179, v178, v89 dst_sel:DWORD dst_unused:UNUSED_PAD src0_sel:DWORD src1_sel:WORD_1
	v_mul_f16_sdwa v180, v183, v89 dst_sel:DWORD dst_unused:UNUSED_PAD src0_sel:DWORD src1_sel:WORD_1
	v_pack_b32_f16 v188, v188, v190
	v_fma_f16 v177, v181, v88, -v177
	v_fma_f16 v179, v183, v89, -v179
	v_fma_f16 v178, v178, v89, v180
	ds_write2_b32 v135, v184, v188 offset0:52 offset1:248
	v_add_f16_e32 v180, v167, v179
	v_add_f16_e32 v181, v169, v177
	;; [unrolled: 1-line block ×11, first 2 shown]
	v_add_f16_sdwa v171, v171, v187 dst_sel:DWORD dst_unused:UNUSED_PAD src0_sel:WORD_1 src1_sel:DWORD
	v_pack_b32_f16 v170, v215, v170
	v_pack_b32_f16 v189, v188, v171
	ds_write2_b32 v113, v170, v189 offset0:8 offset1:204
	v_sub_f16_e32 v170, v175, v173
	v_sub_f16_e32 v172, v174, v172
	;; [unrolled: 1-line block ×10, first 2 shown]
	v_mul_f16_e32 v174, 0x3a52, v174
	v_mul_f16_e32 v182, 0x2b26, v175
	v_sub_f16_e32 v168, v168, v176
	v_sub_f16_e32 v176, v185, v184
	v_add_f16_e32 v179, v170, v169
	v_sub_f16_e32 v180, v170, v169
	v_sub_f16_e32 v169, v169, v167
	v_fma_f16 v175, v175, s0, v174
	v_fma_f16 v182, v173, s7, -v182
	v_fma_f16 v173, v173, s12, -v174
	v_mul_f16_e32 v174, 0x3a52, v177
	v_mul_f16_e32 v177, 0x2b26, v178
	v_sub_f16_e32 v170, v167, v170
	v_add_f16_e32 v167, v179, v167
	v_add_f16_e32 v179, v172, v168
	v_sub_f16_e32 v181, v172, v168
	v_sub_f16_e32 v168, v168, v166
	v_fma_f16 v178, v178, s0, v174
	v_fma_f16 v177, v176, s7, -v177
	v_fma_f16 v174, v176, s12, -v174
	v_mul_f16_e32 v176, 0xb846, v180
	v_mul_f16_e32 v180, 0xbb00, v169
	v_sub_f16_e32 v172, v166, v172
	v_fma_f16 v169, v169, s15, -v176
	v_fma_f16 v176, v170, s1, v176
	v_fma_f16 v170, v170, s13, v180
	v_mul_f16_e32 v180, 0xb846, v181
	v_mul_f16_e32 v181, 0xbb00, v168
	v_add_f16_e32 v166, v179, v166
	v_fma_f16 v179, v183, s6, v188
	v_fma_f16 v171, v187, s6, v171
	v_fma_f16 v168, v168, s15, -v180
	v_fma_f16 v180, v172, s1, v180
	v_fma_f16 v172, v172, s13, v181
	v_add_f16_e32 v175, v175, v179
	v_add_f16_e32 v173, v173, v179
	;; [unrolled: 1-line block ×5, first 2 shown]
	v_fma_f16 v174, v167, s14, v176
	v_fma_f16 v169, v167, s14, v169
	;; [unrolled: 1-line block ×6, first 2 shown]
	v_add_f16_e32 v176, v169, v177
	v_sub_f16_e32 v169, v177, v169
	v_add_f16_e32 v177, v166, v173
	v_sub_f16_e32 v166, v173, v166
	v_sub_f16_e32 v173, v171, v167
	v_add_f16_e32 v167, v167, v171
	v_add_f16_e32 v171, v170, v175
	v_sub_f16_e32 v170, v175, v170
	v_sub_f16_e32 v175, v178, v174
	v_add_f16_e32 v181, v182, v179
	v_pack_b32_f16 v171, v171, v175
	v_sub_f16_e32 v172, v181, v168
	v_add_f16_e32 v168, v168, v181
	v_add_f16_e32 v174, v174, v178
	ds_write_b32 v126, v171 offset:5488
	v_pack_b32_f16 v171, v177, v173
	v_pack_b32_f16 v166, v166, v167
	ds_write_b32 v126, v171 offset:8624
	v_pack_b32_f16 v171, v172, v176
	v_pack_b32_f16 v168, v168, v169
	ds_write_b32 v126, v166 offset:18032
	v_pack_b32_f16 v166, v170, v174
	ds_write_b32 v126, v171 offset:11760
	ds_write_b32 v126, v168 offset:14896
	;; [unrolled: 1-line block ×3, first 2 shown]
	s_waitcnt lgkmcnt(0)
	s_barrier
	global_load_dword v85, v[84:85], off offset:1472
	v_add_co_u32_e32 v166, vcc, s2, v139
	v_addc_co_u32_e32 v167, vcc, 0, v140, vcc
	global_load_dword v172, v[166:167], off offset:784
	global_load_dword v173, v[166:167], off offset:1568
	s_movk_i32 s2, 0x6000
	global_load_dword v174, v[166:167], off offset:2352
	v_add_co_u32_e32 v168, vcc, s2, v139
	v_addc_co_u32_e32 v169, vcc, 0, v140, vcc
	global_load_dword v84, v[168:169], off offset:2080
	global_load_dword v175, v[168:169], off offset:2864
	;; [unrolled: 1-line block ×4, first 2 shown]
	s_movk_i32 s2, 0x7000
	v_add_co_u32_e32 v168, vcc, s2, v139
	v_addc_co_u32_e32 v169, vcc, 0, v140, vcc
	s_mov_b32 s14, 0x8000
	v_add_co_u32_e32 v170, vcc, s14, v139
	v_addc_co_u32_e32 v171, vcc, 0, v140, vcc
	global_load_dword v182, v[170:171], off offset:160
	global_load_dword v180, v[170:171], off offset:944
	global_load_dword v178, v[168:169], off offset:2688
	global_load_dword v183, v[166:167], off offset:3920
	ds_read2_b32 v[166:167], v126 offset1:196
	global_load_dword v179, v[168:169], off offset:1904
	global_load_dword v184, v[168:169], off offset:3472
	;; [unrolled: 1-line block ×4, first 2 shown]
	s_mov_b32 s2, 0x9000
	s_waitcnt lgkmcnt(0)
	v_lshrrev_b32_e32 v168, 16, v166
	s_waitcnt vmcnt(15)
	v_mul_f16_sdwa v169, v166, v85 dst_sel:DWORD dst_unused:UNUSED_PAD src0_sel:DWORD src1_sel:WORD_1
	v_fma_f16 v169, v168, v85, v169
	v_mul_f16_sdwa v168, v168, v85 dst_sel:DWORD dst_unused:UNUSED_PAD src0_sel:DWORD src1_sel:WORD_1
	v_fma_f16 v85, v166, v85, -v168
	v_pack_b32_f16 v85, v85, v169
	ds_write_b32 v126, v85
	global_load_dword v85, v[170:171], off offset:1728
	v_lshrrev_b32_e32 v166, 16, v167
	s_waitcnt vmcnt(15)
	v_mul_f16_sdwa v168, v166, v172 dst_sel:DWORD dst_unused:UNUSED_PAD src0_sel:DWORD src1_sel:WORD_1
	v_fma_f16 v181, v167, v172, -v168
	v_mul_f16_sdwa v167, v167, v172 dst_sel:DWORD dst_unused:UNUSED_PAD src0_sel:DWORD src1_sel:WORD_1
	v_fma_f16 v166, v166, v172, v167
	v_pack_b32_f16 v172, v181, v166
	v_add_co_u32_e32 v166, vcc, s2, v139
	v_addc_co_u32_e32 v167, vcc, 0, v140, vcc
	ds_read2_b32 v[168:169], v113 offset0:8 offset1:204
	global_load_dword v187, v[166:167], off offset:2336
	global_load_dword v188, v[166:167], off offset:3120
	;; [unrolled: 1-line block ×8, first 2 shown]
	s_mov_b32 s2, 0xa000
	v_add_co_u32_e32 v139, vcc, s2, v139
	s_waitcnt lgkmcnt(0)
	v_lshrrev_b32_e32 v181, 16, v168
	s_waitcnt vmcnt(22)
	v_mul_f16_sdwa v170, v168, v173 dst_sel:DWORD dst_unused:UNUSED_PAD src0_sel:DWORD src1_sel:WORD_1
	v_mul_f16_sdwa v171, v181, v173 dst_sel:DWORD dst_unused:UNUSED_PAD src0_sel:DWORD src1_sel:WORD_1
	v_fma_f16 v170, v181, v173, v170
	v_fma_f16 v168, v168, v173, -v171
	v_pack_b32_f16 v168, v168, v170
	v_add_u32_e32 v170, 0x300, v126
	ds_write2_b32 v170, v172, v168 offset0:4 offset1:200
	ds_read2_b32 v[170:171], v133 offset0:16 offset1:212
	v_lshrrev_b32_e32 v168, 16, v169
	s_waitcnt vmcnt(21)
	v_mul_f16_sdwa v172, v168, v174 dst_sel:DWORD dst_unused:UNUSED_PAD src0_sel:DWORD src1_sel:WORD_1
	v_fma_f16 v172, v169, v174, -v172
	v_mul_f16_sdwa v169, v169, v174 dst_sel:DWORD dst_unused:UNUSED_PAD src0_sel:DWORD src1_sel:WORD_1
	v_fma_f16 v168, v168, v174, v169
	s_waitcnt lgkmcnt(0)
	v_lshrrev_b32_e32 v169, 16, v170
	s_waitcnt vmcnt(18)
	v_mul_f16_sdwa v173, v170, v176 dst_sel:DWORD dst_unused:UNUSED_PAD src0_sel:DWORD src1_sel:WORD_1
	v_addc_co_u32_e32 v140, vcc, 0, v140, vcc
	global_load_dword v195, v[139:140], off offset:592
	v_fma_f16 v173, v169, v176, v173
	v_mul_f16_sdwa v169, v169, v176 dst_sel:DWORD dst_unused:UNUSED_PAD src0_sel:DWORD src1_sel:WORD_1
	ds_read2_b32 v[166:167], v131 offset0:32 offset1:228
	v_fma_f16 v169, v170, v176, -v169
	v_pack_b32_f16 v169, v169, v173
	v_pack_b32_f16 v168, v172, v168
	v_add_u32_e32 v170, 0x900, v126
	ds_write2_b32 v170, v168, v169 offset0:12 offset1:208
	ds_read2_b32 v[168:169], v111 offset0:24 offset1:220
	s_waitcnt lgkmcnt(2)
	v_lshrrev_b32_e32 v170, 16, v166
	s_waitcnt vmcnt(18)
	v_mul_f16_sdwa v172, v166, v177 dst_sel:DWORD dst_unused:UNUSED_PAD src0_sel:DWORD src1_sel:WORD_1
	v_fma_f16 v172, v170, v177, v172
	v_mul_f16_sdwa v170, v170, v177 dst_sel:DWORD dst_unused:UNUSED_PAD src0_sel:DWORD src1_sel:WORD_1
	v_fma_f16 v166, v166, v177, -v170
	v_pack_b32_f16 v166, v166, v172
	s_waitcnt lgkmcnt(0)
	v_lshrrev_b32_e32 v170, 16, v169
	v_mul_f16_sdwa v172, v169, v175 dst_sel:DWORD dst_unused:UNUSED_PAD src0_sel:DWORD src1_sel:WORD_1
	v_fma_f16 v174, v170, v175, v172
	v_mul_f16_sdwa v170, v170, v175 dst_sel:DWORD dst_unused:UNUSED_PAD src0_sel:DWORD src1_sel:WORD_1
	ds_read2_b32 v[172:173], v130 offset0:48 offset1:244
	v_fma_f16 v169, v169, v175, -v170
	v_pack_b32_f16 v169, v169, v174
	v_add_u32_e32 v170, 0x1500, v126
	ds_write2_b32 v170, v169, v166 offset0:28 offset1:224
	ds_read2_b32 v[169:170], v109 offset0:40 offset1:236
	s_waitcnt lgkmcnt(2)
	v_lshrrev_b32_e32 v166, 16, v172
	s_waitcnt vmcnt(15)
	v_mul_f16_sdwa v174, v172, v178 dst_sel:DWORD dst_unused:UNUSED_PAD src0_sel:DWORD src1_sel:WORD_1
	v_fma_f16 v174, v166, v178, v174
	v_mul_f16_sdwa v166, v166, v178 dst_sel:DWORD dst_unused:UNUSED_PAD src0_sel:DWORD src1_sel:WORD_1
	v_fma_f16 v166, v172, v178, -v166
	v_pack_b32_f16 v166, v166, v174
	s_waitcnt lgkmcnt(0)
	v_lshrrev_b32_e32 v172, 16, v170
	s_waitcnt vmcnt(13)
	v_mul_f16_sdwa v174, v170, v179 dst_sel:DWORD dst_unused:UNUSED_PAD src0_sel:DWORD src1_sel:WORD_1
	v_fma_f16 v176, v172, v179, v174
	ds_read2_b32 v[174:175], v129 offset1:196
	v_mul_f16_sdwa v172, v172, v179 dst_sel:DWORD dst_unused:UNUSED_PAD src0_sel:DWORD src1_sel:WORD_1
	v_fma_f16 v170, v170, v179, -v172
	v_pack_b32_f16 v170, v170, v176
	ds_read2_b32 v[176:177], v107 offset0:56 offset1:252
	v_add_u32_e32 v172, 0x2100, v126
	ds_write2_b32 v172, v170, v166 offset0:44 offset1:240
	s_waitcnt lgkmcnt(2)
	v_lshrrev_b32_e32 v166, 16, v174
	ds_read2_b32 v[178:179], v128 offset0:16 offset1:212
	s_mov_b32 s2, 0xb70e
	s_waitcnt vmcnt(9)
	v_mul_f16_sdwa v170, v174, v85 dst_sel:DWORD dst_unused:UNUSED_PAD src0_sel:DWORD src1_sel:WORD_1
	v_fma_f16 v170, v166, v85, v170
	v_mul_f16_sdwa v166, v166, v85 dst_sel:DWORD dst_unused:UNUSED_PAD src0_sel:DWORD src1_sel:WORD_1
	v_fma_f16 v85, v174, v85, -v166
	v_pack_b32_f16 v85, v85, v170
	s_waitcnt lgkmcnt(2)
	v_lshrrev_b32_e32 v166, 16, v177
	v_mul_f16_sdwa v170, v177, v180 dst_sel:DWORD dst_unused:UNUSED_PAD src0_sel:DWORD src1_sel:WORD_1
	v_fma_f16 v170, v166, v180, v170
	v_mul_f16_sdwa v166, v166, v180 dst_sel:DWORD dst_unused:UNUSED_PAD src0_sel:DWORD src1_sel:WORD_1
	v_fma_f16 v166, v177, v180, -v166
	ds_read2_b32 v[180:181], v106 offset0:8 offset1:204
	v_pack_b32_f16 v166, v166, v170
	v_add_u32_e32 v170, 0x2d80, v126
	ds_write2_b32 v170, v166, v85 offset0:28 offset1:224
	s_waitcnt lgkmcnt(2)
	v_lshrrev_b32_e32 v85, 16, v178
	s_waitcnt vmcnt(2)
	v_mul_f16_sdwa v166, v178, v193 dst_sel:DWORD dst_unused:UNUSED_PAD src0_sel:DWORD src1_sel:WORD_1
	v_fma_f16 v166, v85, v193, v166
	v_mul_f16_sdwa v85, v85, v193 dst_sel:DWORD dst_unused:UNUSED_PAD src0_sel:DWORD src1_sel:WORD_1
	v_fma_f16 v85, v178, v193, -v85
	v_pack_b32_f16 v85, v85, v166
	s_waitcnt lgkmcnt(1)
	v_lshrrev_b32_e32 v166, 16, v181
	v_mul_f16_sdwa v170, v181, v191 dst_sel:DWORD dst_unused:UNUSED_PAD src0_sel:DWORD src1_sel:WORD_1
	v_fma_f16 v170, v166, v191, v170
	v_mul_f16_sdwa v166, v166, v191 dst_sel:DWORD dst_unused:UNUSED_PAD src0_sel:DWORD src1_sel:WORD_1
	v_fma_f16 v166, v181, v191, -v166
	v_pack_b32_f16 v166, v166, v170
	v_add_u32_e32 v170, 0x3a00, v126
	ds_write2_b32 v170, v166, v85 offset0:12 offset1:208
	ds_read2_b32 v[177:178], v127 offset0:32 offset1:228
	global_load_dword v166, v[139:140], off offset:1376
	global_load_dword v170, v[139:140], off offset:2160
	ds_read2_b32 v[139:140], v105 offset0:24 offset1:220
	s_waitcnt lgkmcnt(1)
	v_lshrrev_b32_e32 v85, 16, v177
	s_waitcnt vmcnt(3)
	v_mul_f16_sdwa v172, v177, v194 dst_sel:DWORD dst_unused:UNUSED_PAD src0_sel:DWORD src1_sel:WORD_1
	v_fma_f16 v172, v85, v194, v172
	v_mul_f16_sdwa v85, v85, v194 dst_sel:DWORD dst_unused:UNUSED_PAD src0_sel:DWORD src1_sel:WORD_1
	v_fma_f16 v85, v177, v194, -v85
	v_pack_b32_f16 v85, v85, v172
	s_waitcnt lgkmcnt(0)
	v_lshrrev_b32_e32 v172, 16, v140
	v_mul_f16_sdwa v174, v140, v188 dst_sel:DWORD dst_unused:UNUSED_PAD src0_sel:DWORD src1_sel:WORD_1
	v_fma_f16 v174, v172, v188, v174
	v_mul_f16_sdwa v172, v172, v188 dst_sel:DWORD dst_unused:UNUSED_PAD src0_sel:DWORD src1_sel:WORD_1
	v_fma_f16 v140, v140, v188, -v172
	v_pack_b32_f16 v140, v140, v174
	v_add_u32_e32 v172, 0x4600, v126
	ds_write2_b32 v172, v140, v85 offset0:28 offset1:224
	v_lshrrev_b32_e32 v85, 16, v171
	v_mul_f16_sdwa v140, v85, v183 dst_sel:DWORD dst_unused:UNUSED_PAD src0_sel:DWORD src1_sel:WORD_1
	v_fma_f16 v140, v171, v183, -v140
	v_mul_f16_sdwa v171, v171, v183 dst_sel:DWORD dst_unused:UNUSED_PAD src0_sel:DWORD src1_sel:WORD_1
	v_fma_f16 v85, v85, v183, v171
	v_lshrrev_b32_e32 v171, 16, v167
	v_mul_f16_sdwa v172, v171, v185 dst_sel:DWORD dst_unused:UNUSED_PAD src0_sel:DWORD src1_sel:WORD_1
	v_fma_f16 v172, v167, v185, -v172
	v_mul_f16_sdwa v167, v167, v185 dst_sel:DWORD dst_unused:UNUSED_PAD src0_sel:DWORD src1_sel:WORD_1
	v_fma_f16 v167, v171, v185, v167
	;; [unrolled: 5-line block ×5, first 2 shown]
	v_lshrrev_b32_e32 v179, 16, v178
	s_waitcnt vmcnt(2)
	v_mul_f16_sdwa v183, v179, v195 dst_sel:DWORD dst_unused:UNUSED_PAD src0_sel:DWORD src1_sel:WORD_1
	v_fma_f16 v183, v178, v195, -v183
	v_mul_f16_sdwa v178, v178, v195 dst_sel:DWORD dst_unused:UNUSED_PAD src0_sel:DWORD src1_sel:WORD_1
	v_fma_f16 v178, v179, v195, v178
	v_lshrrev_b32_e32 v179, 16, v168
	v_mul_f16_sdwa v184, v179, v84 dst_sel:DWORD dst_unused:UNUSED_PAD src0_sel:DWORD src1_sel:WORD_1
	v_fma_f16 v184, v168, v84, -v184
	v_mul_f16_sdwa v168, v168, v84 dst_sel:DWORD dst_unused:UNUSED_PAD src0_sel:DWORD src1_sel:WORD_1
	v_fma_f16 v84, v179, v84, v168
	v_pack_b32_f16 v85, v140, v85
	v_pack_b32_f16 v84, v184, v84
	ds_write2_b32 v132, v85, v84 offset0:20 offset1:216
	v_lshrrev_b32_e32 v84, 16, v169
	v_mul_f16_sdwa v85, v84, v186 dst_sel:DWORD dst_unused:UNUSED_PAD src0_sel:DWORD src1_sel:WORD_1
	v_mul_f16_sdwa v140, v169, v186 dst_sel:DWORD dst_unused:UNUSED_PAD src0_sel:DWORD src1_sel:WORD_1
	v_fma_f16 v85, v169, v186, -v85
	v_fma_f16 v84, v84, v186, v140
	v_pack_b32_f16 v140, v172, v167
	v_pack_b32_f16 v84, v85, v84
	ds_write2_b32 v134, v140, v84 offset0:36 offset1:232
	v_lshrrev_b32_e32 v84, 16, v176
	v_mul_f16_sdwa v85, v84, v182 dst_sel:DWORD dst_unused:UNUSED_PAD src0_sel:DWORD src1_sel:WORD_1
	v_mul_f16_sdwa v140, v176, v182 dst_sel:DWORD dst_unused:UNUSED_PAD src0_sel:DWORD src1_sel:WORD_1
	v_fma_f16 v85, v176, v182, -v85
	;; [unrolled: 8-line block ×3, first 2 shown]
	v_fma_f16 v84, v84, v190, v140
	v_pack_b32_f16 v140, v177, v173
	v_pack_b32_f16 v84, v85, v84
	ds_write2_b32 v136, v140, v84 offset0:4 offset1:200
	v_lshrrev_b32_e32 v84, 16, v139
	v_mul_f16_sdwa v85, v84, v187 dst_sel:DWORD dst_unused:UNUSED_PAD src0_sel:DWORD src1_sel:WORD_1
	v_fma_f16 v140, v139, v187, -v85
	v_mul_f16_sdwa v85, v139, v187 dst_sel:DWORD dst_unused:UNUSED_PAD src0_sel:DWORD src1_sel:WORD_1
	v_fma_f16 v139, v84, v187, v85
	ds_read2_b32 v[84:85], v102 offset0:40 offset1:236
	v_pack_b32_f16 v167, v181, v175
	v_pack_b32_f16 v139, v140, v139
	ds_write2_b32 v137, v167, v139 offset0:20 offset1:216
	v_pack_b32_f16 v139, v183, v178
	s_waitcnt lgkmcnt(1)
	v_lshrrev_b32_e32 v140, 16, v84
	s_waitcnt vmcnt(1)
	v_mul_f16_sdwa v167, v84, v166 dst_sel:DWORD dst_unused:UNUSED_PAD src0_sel:DWORD src1_sel:WORD_1
	v_fma_f16 v167, v140, v166, v167
	v_mul_f16_sdwa v140, v140, v166 dst_sel:DWORD dst_unused:UNUSED_PAD src0_sel:DWORD src1_sel:WORD_1
	v_fma_f16 v84, v84, v166, -v140
	v_pack_b32_f16 v84, v84, v167
	ds_write2_b32 v138, v139, v84 offset0:36 offset1:232
	v_lshrrev_b32_e32 v84, 16, v85
	s_waitcnt vmcnt(0)
	v_mul_f16_sdwa v139, v84, v170 dst_sel:DWORD dst_unused:UNUSED_PAD src0_sel:DWORD src1_sel:WORD_1
	v_fma_f16 v139, v85, v170, -v139
	v_mul_f16_sdwa v85, v85, v170 dst_sel:DWORD dst_unused:UNUSED_PAD src0_sel:DWORD src1_sel:WORD_1
	v_fma_f16 v84, v84, v170, v85
	v_pack_b32_f16 v84, v139, v84
	ds_write_b32 v126, v84 offset:21168
	s_waitcnt lgkmcnt(0)
	s_barrier
	ds_read2_b32 v[84:85], v133 offset0:16 offset1:212
	ds_read2_b32 v[139:140], v127 offset0:32 offset1:228
	;; [unrolled: 1-line block ×4, first 2 shown]
	s_waitcnt lgkmcnt(2)
	v_add_f16_e32 v170, v84, v139
	v_add_f16_sdwa v171, v84, v139 dst_sel:DWORD dst_unused:UNUSED_PAD src0_sel:WORD_1 src1_sel:WORD_1
	v_sub_f16_e32 v172, v84, v139
	v_sub_f16_sdwa v173, v84, v139 dst_sel:DWORD dst_unused:UNUSED_PAD src0_sel:WORD_1 src1_sel:WORD_1
	v_add_f16_e32 v174, v85, v140
	v_add_f16_sdwa v175, v85, v140 dst_sel:DWORD dst_unused:UNUSED_PAD src0_sel:WORD_1 src1_sel:WORD_1
	v_sub_f16_e32 v176, v85, v140
	v_sub_f16_sdwa v177, v85, v140 dst_sel:DWORD dst_unused:UNUSED_PAD src0_sel:WORD_1 src1_sel:WORD_1
	ds_read2_b32 v[84:85], v130 offset0:48 offset1:244
	ds_read2_b32 v[139:140], v129 offset1:196
	s_waitcnt lgkmcnt(2)
	v_add_f16_e32 v178, v166, v168
	v_add_f16_sdwa v179, v166, v168 dst_sel:DWORD dst_unused:UNUSED_PAD src0_sel:WORD_1 src1_sel:WORD_1
	v_sub_f16_e32 v180, v166, v168
	v_sub_f16_sdwa v181, v166, v168 dst_sel:DWORD dst_unused:UNUSED_PAD src0_sel:WORD_1 src1_sel:WORD_1
	v_add_f16_e32 v182, v167, v169
	v_add_f16_sdwa v183, v167, v169 dst_sel:DWORD dst_unused:UNUSED_PAD src0_sel:WORD_1 src1_sel:WORD_1
	v_sub_f16_e32 v184, v167, v169
	v_sub_f16_sdwa v185, v167, v169 dst_sel:DWORD dst_unused:UNUSED_PAD src0_sel:WORD_1 src1_sel:WORD_1
	ds_read2_b32 v[166:167], v111 offset0:24 offset1:220
	ds_read2_b32 v[168:169], v102 offset0:40 offset1:236
	s_waitcnt lgkmcnt(2)
	v_add_f16_e32 v186, v84, v139
	v_add_f16_sdwa v187, v84, v139 dst_sel:DWORD dst_unused:UNUSED_PAD src0_sel:WORD_1 src1_sel:WORD_1
	v_sub_f16_e32 v188, v139, v84
	v_sub_f16_sdwa v189, v139, v84 dst_sel:DWORD dst_unused:UNUSED_PAD src0_sel:WORD_1 src1_sel:WORD_1
	v_add_f16_e32 v190, v85, v140
	v_add_f16_sdwa v191, v85, v140 dst_sel:DWORD dst_unused:UNUSED_PAD src0_sel:WORD_1 src1_sel:WORD_1
	v_sub_f16_e32 v192, v140, v85
	v_sub_f16_sdwa v193, v140, v85 dst_sel:DWORD dst_unused:UNUSED_PAD src0_sel:WORD_1 src1_sel:WORD_1
	ds_read2_b32 v[84:85], v109 offset0:40 offset1:236
	ds_read2_b32 v[139:140], v105 offset0:24 offset1:220
	;; [unrolled: 11-line block ×3, first 2 shown]
	s_waitcnt lgkmcnt(2)
	v_add_f16_e32 v202, v84, v139
	v_add_f16_sdwa v203, v84, v139 dst_sel:DWORD dst_unused:UNUSED_PAD src0_sel:WORD_1 src1_sel:WORD_1
	v_sub_f16_e32 v204, v84, v139
	v_sub_f16_sdwa v205, v84, v139 dst_sel:DWORD dst_unused:UNUSED_PAD src0_sel:WORD_1 src1_sel:WORD_1
	v_add_f16_e32 v84, v178, v170
	v_add_f16_e32 v139, v186, v84
	v_add_f16_e32 v84, v179, v171
	v_add_f16_e32 v206, v85, v140
	v_add_f16_sdwa v207, v85, v140 dst_sel:DWORD dst_unused:UNUSED_PAD src0_sel:WORD_1 src1_sel:WORD_1
	v_sub_f16_e32 v208, v85, v140
	v_sub_f16_sdwa v209, v85, v140 dst_sel:DWORD dst_unused:UNUSED_PAD src0_sel:WORD_1 src1_sel:WORD_1
	s_waitcnt lgkmcnt(0)
	v_add_f16_e32 v210, v166, v168
	v_add_f16_sdwa v211, v166, v168 dst_sel:DWORD dst_unused:UNUSED_PAD src0_sel:WORD_1 src1_sel:WORD_1
	v_sub_f16_e32 v212, v168, v166
	v_sub_f16_sdwa v166, v168, v166 dst_sel:DWORD dst_unused:UNUSED_PAD src0_sel:WORD_1 src1_sel:WORD_1
	v_add_f16_e32 v168, v167, v169
	v_add_f16_sdwa v213, v167, v169 dst_sel:DWORD dst_unused:UNUSED_PAD src0_sel:WORD_1 src1_sel:WORD_1
	v_sub_f16_e32 v214, v169, v167
	v_sub_f16_sdwa v167, v169, v167 dst_sel:DWORD dst_unused:UNUSED_PAD src0_sel:WORD_1 src1_sel:WORD_1
	v_sub_f16_e32 v140, v170, v186
	v_sub_f16_e32 v169, v186, v178
	v_add_f16_e32 v186, v187, v84
	v_add_f16_e32 v84, v188, v180
	;; [unrolled: 1-line block ×5, first 2 shown]
	ds_read2_b32 v[84:85], v126 offset1:196
	v_sub_f16_e32 v215, v171, v187
	v_mul_f16_e32 v220, 0x3a52, v140
	v_sub_f16_e32 v187, v187, v179
	v_sub_f16_e32 v216, v188, v180
	s_waitcnt lgkmcnt(0)
	v_add_f16_e32 v140, v84, v139
	v_mul_f16_e32 v215, 0x3a52, v215
	v_fma_f16 v221, v139, s6, v140
	v_add_f16_sdwa v84, v84, v186 dst_sel:DWORD dst_unused:UNUSED_PAD src0_sel:WORD_1 src1_sel:DWORD
	v_fma_f16 v139, v169, s0, v220
	v_sub_f16_e32 v188, v172, v188
	v_sub_f16_e32 v217, v189, v181
	v_mul_f16_e32 v216, 0x3846, v216
	v_fma_f16 v186, v186, s6, v84
	v_add_f16_e32 v222, v139, v221
	v_fma_f16 v139, v187, s0, v215
	v_sub_f16_e32 v189, v173, v189
	v_mul_f16_e32 v217, 0x3846, v217
	v_add_f16_e32 v223, v139, v186
	v_fma_f16 v139, v188, s13, v216
	v_fma_f16 v224, v218, s2, v139
	;; [unrolled: 1-line block ×4, first 2 shown]
	v_add_f16_e32 v139, v222, v225
	v_sub_f16_e32 v226, v223, v224
	v_pack_b32_f16 v226, v139, v226
	v_pack_b32_f16 v84, v140, v84
	ds_read2_b32 v[139:140], v113 offset0:8 offset1:204
	s_waitcnt lgkmcnt(0)
	s_barrier
	ds_write2_b32 v148, v84, v226 offset1:1
	v_sub_f16_e32 v84, v178, v170
	v_sub_f16_e32 v170, v179, v171
	;; [unrolled: 1-line block ×4, first 2 shown]
	v_mul_f16_e32 v169, 0x2b26, v169
	v_mul_f16_e32 v173, 0x2b26, v187
	v_fma_f16 v169, v84, s7, -v169
	v_fma_f16 v173, v170, s7, -v173
	;; [unrolled: 1-line block ×3, first 2 shown]
	v_mul_f16_e32 v171, 0x3b00, v171
	v_fma_f16 v179, v172, s3, -v217
	v_mul_f16_e32 v172, 0x3b00, v172
	v_fma_f16 v84, v84, s12, -v220
	v_fma_f16 v170, v170, s12, -v215
	v_fma_f16 v171, v188, s1, v171
	v_fma_f16 v172, v189, s1, v172
	v_add_f16_e32 v169, v169, v221
	v_add_f16_e32 v173, v173, v186
	v_fma_f16 v178, v218, s2, v178
	v_fma_f16 v179, v219, s2, v179
	v_add_f16_e32 v84, v84, v221
	v_add_f16_e32 v170, v170, v186
	v_fma_f16 v171, v218, s2, v171
	v_fma_f16 v172, v219, s2, v172
	v_sub_f16_e32 v180, v169, v179
	v_add_f16_e32 v181, v178, v173
	v_pack_b32_f16 v180, v180, v181
	v_add_f16_e32 v181, v172, v84
	v_sub_f16_e32 v186, v170, v171
	v_add_f16_e32 v169, v179, v169
	v_sub_f16_e32 v173, v173, v178
	v_sub_f16_e32 v84, v84, v172
	v_add_f16_e32 v170, v171, v170
	v_pack_b32_f16 v84, v84, v170
	v_pack_b32_f16 v169, v169, v173
	ds_write2_b32 v148, v169, v84 offset0:4 offset1:5
	v_sub_f16_e32 v84, v222, v225
	v_add_f16_e32 v169, v224, v223
	v_pack_b32_f16 v181, v181, v186
	v_pack_b32_f16 v84, v84, v169
	ds_write2_b32 v148, v181, v180 offset0:2 offset1:3
	ds_write_b32 v148, v84 offset:24
	v_add_f16_e32 v84, v182, v174
	v_add_f16_e32 v148, v183, v175
	;; [unrolled: 1-line block ×4, first 2 shown]
	v_sub_f16_e32 v170, v174, v190
	v_sub_f16_e32 v172, v175, v191
	;; [unrolled: 1-line block ×4, first 2 shown]
	v_add_f16_e32 v169, v85, v84
	v_add_f16_sdwa v85, v85, v148 dst_sel:DWORD dst_unused:UNUSED_PAD src0_sel:WORD_1 src1_sel:DWORD
	v_sub_f16_e32 v171, v190, v182
	v_sub_f16_e32 v173, v191, v183
	v_add_f16_e32 v178, v192, v184
	v_sub_f16_e32 v180, v176, v192
	v_add_f16_e32 v181, v193, v185
	v_sub_f16_e32 v187, v177, v193
	v_mul_f16_e32 v170, 0x3a52, v170
	v_mul_f16_e32 v172, 0x3a52, v172
	;; [unrolled: 1-line block ×4, first 2 shown]
	v_add_f16_e32 v178, v178, v176
	v_add_f16_e32 v181, v181, v177
	v_fma_f16 v84, v84, s6, v169
	v_fma_f16 v148, v148, s6, v85
	v_fma_f16 v188, v171, s0, v170
	v_fma_f16 v189, v173, s0, v172
	v_fma_f16 v190, v180, s13, v179
	v_fma_f16 v191, v187, s13, v186
	v_add_f16_e32 v188, v188, v84
	v_add_f16_e32 v189, v189, v148
	v_fma_f16 v190, v178, s2, v190
	v_fma_f16 v191, v181, s2, v191
	v_add_f16_e32 v192, v188, v191
	v_sub_f16_e32 v193, v189, v190
	v_pack_b32_f16 v192, v192, v193
	v_pack_b32_f16 v85, v169, v85
	ds_write2_b32 v147, v85, v192 offset1:1
	v_sub_f16_e32 v85, v182, v174
	v_mul_f16_e32 v171, 0x2b26, v171
	v_sub_f16_e32 v169, v183, v175
	v_sub_f16_e32 v174, v184, v176
	;; [unrolled: 1-line block ×3, first 2 shown]
	v_fma_f16 v171, v85, s7, -v171
	v_fma_f16 v85, v85, s12, -v170
	v_mul_f16_e32 v170, 0x2b26, v173
	v_fma_f16 v170, v169, s7, -v170
	v_fma_f16 v169, v169, s12, -v172
	;; [unrolled: 1-line block ×3, first 2 shown]
	v_mul_f16_e32 v173, 0x3b00, v174
	v_fma_f16 v174, v175, s3, -v186
	v_mul_f16_e32 v175, 0x3b00, v175
	v_fma_f16 v173, v180, s1, v173
	v_fma_f16 v175, v187, s1, v175
	v_add_f16_e32 v171, v171, v84
	v_add_f16_e32 v84, v85, v84
	;; [unrolled: 1-line block ×4, first 2 shown]
	v_fma_f16 v169, v178, s2, v172
	v_fma_f16 v172, v181, s2, v174
	;; [unrolled: 1-line block ×4, first 2 shown]
	v_sub_f16_e32 v174, v171, v172
	v_add_f16_e32 v175, v169, v85
	v_pack_b32_f16 v174, v174, v175
	v_add_f16_e32 v175, v173, v84
	v_sub_f16_e32 v176, v148, v170
	v_add_f16_e32 v171, v172, v171
	v_sub_f16_e32 v85, v85, v169
	v_sub_f16_e32 v84, v84, v173
	v_add_f16_e32 v148, v170, v148
	v_pack_b32_f16 v84, v84, v148
	v_pack_b32_f16 v85, v171, v85
	ds_write2_b32 v147, v85, v84 offset0:4 offset1:5
	v_sub_f16_e32 v84, v188, v191
	v_add_f16_e32 v85, v190, v189
	v_pack_b32_f16 v84, v84, v85
	v_pack_b32_f16 v175, v175, v176
	ds_write_b32 v147, v84 offset:24
	v_add_f16_e32 v84, v202, v194
	v_add_f16_e32 v148, v203, v195
	ds_write2_b32 v147, v175, v174 offset0:2 offset1:3
	v_add_f16_e32 v84, v210, v84
	v_sub_f16_e32 v85, v194, v210
	v_add_f16_e32 v148, v211, v148
	v_sub_f16_e32 v169, v195, v211
	v_sub_f16_e32 v172, v212, v204
	;; [unrolled: 1-line block ×5, first 2 shown]
	v_add_f16_e32 v171, v212, v204
	v_sub_f16_e32 v173, v196, v212
	v_add_f16_e32 v174, v166, v205
	v_sub_f16_e32 v166, v197, v166
	v_mul_f16_e32 v85, 0x3a52, v85
	v_mul_f16_e32 v169, 0x3a52, v169
	;; [unrolled: 1-line block ×4, first 2 shown]
	v_add_f16_e32 v176, v139, v84
	v_add_f16_sdwa v139, v139, v148 dst_sel:DWORD dst_unused:UNUSED_PAD src0_sel:WORD_1 src1_sel:DWORD
	v_add_f16_e32 v171, v171, v196
	v_add_f16_e32 v174, v174, v197
	v_fma_f16 v84, v84, s6, v176
	v_fma_f16 v148, v148, s6, v139
	;; [unrolled: 1-line block ×6, first 2 shown]
	v_add_f16_e32 v177, v177, v84
	v_add_f16_e32 v178, v178, v148
	v_fma_f16 v179, v171, s2, v179
	v_fma_f16 v180, v174, s2, v180
	v_add_f16_e32 v181, v177, v180
	v_sub_f16_e32 v182, v178, v179
	v_pack_b32_f16 v181, v181, v182
	v_pack_b32_f16 v139, v176, v139
	ds_write2_b32 v143, v139, v181 offset1:1
	v_sub_f16_e32 v139, v202, v194
	v_sub_f16_e32 v181, v204, v196
	v_mul_f16_e32 v147, 0x2b26, v147
	v_sub_f16_e32 v176, v203, v195
	v_sub_f16_e32 v182, v205, v197
	v_fma_f16 v147, v139, s7, -v147
	v_fma_f16 v85, v139, s12, -v85
	v_mul_f16_e32 v139, 0x2b26, v170
	v_fma_f16 v170, v181, s3, -v172
	v_mul_f16_e32 v172, 0x3b00, v181
	v_fma_f16 v139, v176, s7, -v139
	v_fma_f16 v169, v176, s12, -v169
	v_fma_f16 v172, v173, s1, v172
	v_fma_f16 v173, v182, s3, -v175
	v_mul_f16_e32 v175, 0x3b00, v182
	v_fma_f16 v166, v166, s1, v175
	v_add_f16_e32 v147, v147, v84
	v_add_f16_e32 v84, v85, v84
	;; [unrolled: 1-line block ×4, first 2 shown]
	v_fma_f16 v148, v171, s2, v170
	v_fma_f16 v170, v174, s2, v173
	;; [unrolled: 1-line block ×4, first 2 shown]
	v_sub_f16_e32 v171, v147, v170
	v_add_f16_e32 v172, v148, v85
	v_pack_b32_f16 v171, v171, v172
	v_add_f16_e32 v172, v166, v84
	v_sub_f16_e32 v173, v139, v169
	v_add_f16_e32 v147, v170, v147
	v_sub_f16_e32 v85, v85, v148
	v_sub_f16_e32 v84, v84, v166
	v_add_f16_e32 v139, v169, v139
	v_pack_b32_f16 v84, v84, v139
	v_pack_b32_f16 v85, v147, v85
	ds_write2_b32 v143, v85, v84 offset0:4 offset1:5
	v_sub_f16_e32 v84, v177, v180
	v_add_f16_e32 v85, v179, v178
	v_pack_b32_f16 v84, v84, v85
	v_pack_b32_f16 v172, v172, v173
	ds_write_b32 v143, v84 offset:24
	v_add_f16_e32 v84, v206, v198
	v_add_f16_e32 v85, v207, v199
	ds_write2_b32 v143, v172, v171 offset0:2 offset1:3
	v_add_f16_e32 v84, v168, v84
	v_add_f16_e32 v85, v213, v85
	v_sub_f16_e32 v143, v198, v168
	v_sub_f16_e32 v148, v199, v213
	;; [unrolled: 1-line block ×4, first 2 shown]
	v_add_f16_e32 v139, v140, v84
	v_add_f16_sdwa v140, v140, v85 dst_sel:DWORD dst_unused:UNUSED_PAD src0_sel:WORD_1 src1_sel:DWORD
	v_sub_f16_e32 v147, v168, v206
	v_sub_f16_e32 v166, v213, v207
	v_add_f16_e32 v168, v214, v208
	v_sub_f16_e32 v170, v200, v214
	v_add_f16_e32 v171, v167, v209
	v_sub_f16_e32 v167, v201, v167
	v_mul_f16_e32 v143, 0x3a52, v143
	v_mul_f16_e32 v148, 0x3a52, v148
	;; [unrolled: 1-line block ×4, first 2 shown]
	v_add_f16_e32 v168, v168, v200
	v_add_f16_e32 v171, v171, v201
	v_fma_f16 v84, v84, s6, v139
	v_fma_f16 v85, v85, s6, v140
	v_fma_f16 v173, v147, s0, v143
	v_fma_f16 v174, v166, s0, v148
	v_fma_f16 v175, v170, s13, v169
	v_fma_f16 v176, v167, s13, v172
	v_add_f16_e32 v173, v173, v84
	v_add_f16_e32 v174, v174, v85
	v_fma_f16 v175, v168, s2, v175
	v_fma_f16 v176, v171, s2, v176
	v_add_f16_e32 v177, v173, v176
	v_sub_f16_e32 v178, v174, v175
	v_pack_b32_f16 v177, v177, v178
	v_pack_b32_f16 v139, v139, v140
	ds_write2_b32 v141, v139, v177 offset1:1
	v_sub_f16_e32 v139, v206, v198
	v_sub_f16_e32 v177, v208, v200
	v_mul_f16_e32 v147, 0x2b26, v147
	v_sub_f16_e32 v140, v207, v199
	v_sub_f16_e32 v178, v209, v201
	v_fma_f16 v147, v139, s7, -v147
	v_fma_f16 v139, v139, s12, -v143
	v_mul_f16_e32 v143, 0x2b26, v166
	v_mul_f16_e32 v166, 0x3b00, v177
	v_fma_f16 v143, v140, s7, -v143
	v_fma_f16 v140, v140, s12, -v148
	;; [unrolled: 1-line block ×3, first 2 shown]
	v_fma_f16 v166, v170, s1, v166
	v_fma_f16 v169, v178, s3, -v172
	v_mul_f16_e32 v170, 0x3b00, v178
	v_fma_f16 v167, v167, s1, v170
	v_add_f16_e32 v147, v147, v84
	v_add_f16_e32 v84, v139, v84
	;; [unrolled: 1-line block ×4, first 2 shown]
	v_fma_f16 v140, v168, s2, v148
	v_fma_f16 v148, v171, s2, v169
	;; [unrolled: 1-line block ×4, first 2 shown]
	v_sub_f16_e32 v167, v147, v148
	v_add_f16_e32 v168, v140, v139
	v_pack_b32_f16 v167, v167, v168
	v_add_f16_e32 v168, v166, v84
	v_sub_f16_e32 v169, v85, v143
	v_add_f16_e32 v147, v148, v147
	v_sub_f16_e32 v139, v139, v140
	v_sub_f16_e32 v84, v84, v166
	v_add_f16_e32 v85, v143, v85
	v_pack_b32_f16 v84, v84, v85
	v_pack_b32_f16 v85, v147, v139
	ds_write2_b32 v141, v85, v84 offset0:4 offset1:5
	v_sub_f16_e32 v84, v173, v176
	v_add_f16_e32 v85, v175, v174
	v_pack_b32_f16 v168, v168, v169
	v_pack_b32_f16 v84, v84, v85
	ds_write2_b32 v141, v168, v167 offset0:2 offset1:3
	ds_write_b32 v141, v84 offset:24
	s_waitcnt lgkmcnt(0)
	s_barrier
	ds_read2_b32 v[84:85], v131 offset0:32 offset1:228
	ds_read2_b32 v[139:140], v107 offset0:56 offset1:252
	;; [unrolled: 1-line block ×3, first 2 shown]
	s_waitcnt lgkmcnt(2)
	v_lshrrev_b32_e32 v141, 16, v84
	v_mul_f16_sdwa v143, v35, v84 dst_sel:DWORD dst_unused:UNUSED_PAD src0_sel:WORD_1 src1_sel:DWORD
	v_fma_f16 v143, v35, v141, -v143
	v_mul_f16_sdwa v141, v35, v141 dst_sel:DWORD dst_unused:UNUSED_PAD src0_sel:WORD_1 src1_sel:DWORD
	v_fma_f16 v84, v35, v84, v141
	s_waitcnt lgkmcnt(1)
	v_lshrrev_b32_e32 v35, 16, v140
	v_mul_f16_sdwa v141, v36, v140 dst_sel:DWORD dst_unused:UNUSED_PAD src0_sel:WORD_1 src1_sel:DWORD
	v_fma_f16 v141, v36, v35, -v141
	v_mul_f16_sdwa v35, v36, v35 dst_sel:DWORD dst_unused:UNUSED_PAD src0_sel:WORD_1 src1_sel:DWORD
	v_fma_f16 v140, v36, v140, v35
	;; [unrolled: 6-line block ×3, first 2 shown]
	v_lshrrev_b32_e32 v35, 16, v85
	v_mul_f16_sdwa v36, v44, v35 dst_sel:DWORD dst_unused:UNUSED_PAD src0_sel:WORD_1 src1_sel:DWORD
	v_fma_f16 v167, v44, v85, v36
	v_mul_f16_sdwa v36, v44, v85 dst_sel:DWORD dst_unused:UNUSED_PAD src0_sel:WORD_1 src1_sel:DWORD
	v_fma_f16 v85, v44, v35, -v36
	ds_read2_b32 v[35:36], v129 offset1:196
	v_lshrrev_b32_e32 v37, 16, v148
	v_mul_f16_sdwa v44, v46, v37 dst_sel:DWORD dst_unused:UNUSED_PAD src0_sel:WORD_1 src1_sel:DWORD
	v_fma_f16 v168, v46, v148, v44
	v_mul_f16_sdwa v44, v46, v148 dst_sel:DWORD dst_unused:UNUSED_PAD src0_sel:WORD_1 src1_sel:DWORD
	v_fma_f16 v46, v46, v37, -v44
	s_waitcnt lgkmcnt(0)
	v_lshrrev_b32_e32 v37, 16, v35
	v_mul_f16_sdwa v44, v45, v35 dst_sel:DWORD dst_unused:UNUSED_PAD src0_sel:WORD_1 src1_sel:DWORD
	v_fma_f16 v148, v45, v37, -v44
	v_mul_f16_sdwa v37, v45, v37 dst_sel:DWORD dst_unused:UNUSED_PAD src0_sel:WORD_1 src1_sel:DWORD
	v_fma_f16 v169, v45, v35, v37
	v_lshrrev_b32_e32 v35, 16, v36
	ds_read2_b32 v[44:45], v109 offset0:40 offset1:236
	v_mul_f16_sdwa v37, v39, v35 dst_sel:DWORD dst_unused:UNUSED_PAD src0_sel:WORD_1 src1_sel:DWORD
	v_fma_f16 v170, v39, v36, v37
	v_mul_f16_sdwa v36, v39, v36 dst_sel:DWORD dst_unused:UNUSED_PAD src0_sel:WORD_1 src1_sel:DWORD
	v_fma_f16 v39, v39, v35, -v36
	ds_read2_b32 v[35:36], v127 offset0:32 offset1:228
	s_waitcnt lgkmcnt(1)
	v_lshrrev_b32_e32 v37, 16, v44
	v_mul_f16_sdwa v171, v38, v44 dst_sel:DWORD dst_unused:UNUSED_PAD src0_sel:WORD_1 src1_sel:DWORD
	v_fma_f16 v171, v38, v37, -v171
	v_mul_f16_sdwa v37, v38, v37 dst_sel:DWORD dst_unused:UNUSED_PAD src0_sel:WORD_1 src1_sel:DWORD
	v_fma_f16 v44, v38, v44, v37
	s_waitcnt lgkmcnt(0)
	v_lshrrev_b32_e32 v37, 16, v35
	v_mul_f16_sdwa v38, v40, v35 dst_sel:DWORD dst_unused:UNUSED_PAD src0_sel:WORD_1 src1_sel:DWORD
	v_fma_f16 v172, v40, v37, -v38
	v_mul_f16_sdwa v37, v40, v37 dst_sel:DWORD dst_unused:UNUSED_PAD src0_sel:WORD_1 src1_sel:DWORD
	v_fma_f16 v40, v40, v35, v37
	v_lshrrev_b32_e32 v35, 16, v45
	v_mul_f16_sdwa v37, v47, v35 dst_sel:DWORD dst_unused:UNUSED_PAD src0_sel:WORD_1 src1_sel:DWORD
	v_fma_f16 v173, v47, v45, v37
	v_mul_f16_sdwa v37, v47, v45 dst_sel:DWORD dst_unused:UNUSED_PAD src0_sel:WORD_1 src1_sel:DWORD
	v_fma_f16 v45, v47, v35, -v37
	ds_read2_b32 v[37:38], v106 offset0:8 offset1:204
	v_lshrrev_b32_e32 v35, 16, v36
	v_mul_f16_sdwa v47, v49, v35 dst_sel:DWORD dst_unused:UNUSED_PAD src0_sel:WORD_1 src1_sel:DWORD
	v_fma_f16 v47, v49, v36, v47
	v_mul_f16_sdwa v36, v49, v36 dst_sel:DWORD dst_unused:UNUSED_PAD src0_sel:WORD_1 src1_sel:DWORD
	v_fma_f16 v49, v49, v35, -v36
	s_waitcnt lgkmcnt(0)
	v_lshrrev_b32_e32 v35, 16, v37
	v_mul_f16_sdwa v36, v48, v37 dst_sel:DWORD dst_unused:UNUSED_PAD src0_sel:WORD_1 src1_sel:DWORD
	v_fma_f16 v174, v48, v35, -v36
	v_mul_f16_sdwa v35, v48, v35 dst_sel:DWORD dst_unused:UNUSED_PAD src0_sel:WORD_1 src1_sel:DWORD
	v_fma_f16 v48, v48, v37, v35
	v_lshrrev_b32_e32 v37, 16, v38
	ds_read2_b32 v[35:36], v130 offset0:48 offset1:244
	v_mul_f16_sdwa v175, v42, v37 dst_sel:DWORD dst_unused:UNUSED_PAD src0_sel:WORD_1 src1_sel:DWORD
	v_fma_f16 v175, v42, v38, v175
	v_mul_f16_sdwa v38, v42, v38 dst_sel:DWORD dst_unused:UNUSED_PAD src0_sel:WORD_1 src1_sel:DWORD
	v_fma_f16 v42, v42, v37, -v38
	ds_read2_b32 v[37:38], v102 offset0:40 offset1:236
	s_waitcnt lgkmcnt(1)
	v_lshrrev_b32_e32 v176, 16, v35
	v_mul_f16_sdwa v177, v41, v35 dst_sel:DWORD dst_unused:UNUSED_PAD src0_sel:WORD_1 src1_sel:DWORD
	v_fma_f16 v177, v41, v176, -v177
	v_mul_f16_sdwa v176, v41, v176 dst_sel:DWORD dst_unused:UNUSED_PAD src0_sel:WORD_1 src1_sel:DWORD
	v_fma_f16 v41, v41, v35, v176
	s_waitcnt lgkmcnt(0)
	v_lshrrev_b32_e32 v35, 16, v37
	v_mul_f16_sdwa v176, v43, v37 dst_sel:DWORD dst_unused:UNUSED_PAD src0_sel:WORD_1 src1_sel:DWORD
	v_fma_f16 v176, v43, v35, -v176
	v_mul_f16_sdwa v35, v43, v35 dst_sel:DWORD dst_unused:UNUSED_PAD src0_sel:WORD_1 src1_sel:DWORD
	v_fma_f16 v43, v43, v37, v35
	v_lshrrev_b32_e32 v35, 16, v36
	v_mul_f16_sdwa v37, v50, v35 dst_sel:DWORD dst_unused:UNUSED_PAD src0_sel:WORD_1 src1_sel:DWORD
	v_fma_f16 v178, v50, v36, v37
	v_mul_f16_sdwa v36, v50, v36 dst_sel:DWORD dst_unused:UNUSED_PAD src0_sel:WORD_1 src1_sel:DWORD
	v_fma_f16 v50, v50, v35, -v36
	ds_read2_b32 v[35:36], v128 offset0:16 offset1:212
	v_lshrrev_b32_e32 v37, 16, v38
	v_mul_f16_sdwa v179, v52, v37 dst_sel:DWORD dst_unused:UNUSED_PAD src0_sel:WORD_1 src1_sel:DWORD
	v_fma_f16 v179, v52, v38, v179
	v_mul_f16_sdwa v38, v52, v38 dst_sel:DWORD dst_unused:UNUSED_PAD src0_sel:WORD_1 src1_sel:DWORD
	v_fma_f16 v52, v52, v37, -v38
	s_waitcnt lgkmcnt(0)
	v_lshrrev_b32_e32 v37, 16, v35
	v_mul_f16_sdwa v38, v51, v35 dst_sel:DWORD dst_unused:UNUSED_PAD src0_sel:WORD_1 src1_sel:DWORD
	v_fma_f16 v180, v51, v37, -v38
	v_mul_f16_sdwa v37, v51, v37 dst_sel:DWORD dst_unused:UNUSED_PAD src0_sel:WORD_1 src1_sel:DWORD
	v_fma_f16 v51, v51, v35, v37
	v_lshrrev_b32_e32 v35, 16, v139
	v_mul_f16_sdwa v37, v33, v35 dst_sel:DWORD dst_unused:UNUSED_PAD src0_sel:WORD_1 src1_sel:DWORD
	v_fma_f16 v181, v33, v139, v37
	v_mul_f16_sdwa v37, v33, v139 dst_sel:DWORD dst_unused:UNUSED_PAD src0_sel:WORD_1 src1_sel:DWORD
	v_fma_f16 v35, v33, v35, -v37
	v_lshrrev_b32_e32 v33, 16, v36
	ds_read2_b32 v[37:38], v111 offset0:24 offset1:220
	v_mul_f16_sdwa v139, v34, v33 dst_sel:DWORD dst_unused:UNUSED_PAD src0_sel:WORD_1 src1_sel:DWORD
	v_fma_f16 v139, v34, v36, v139
	v_mul_f16_sdwa v36, v34, v36 dst_sel:DWORD dst_unused:UNUSED_PAD src0_sel:WORD_1 src1_sel:DWORD
	v_fma_f16 v36, v34, v33, -v36
	ds_read2_b32 v[33:34], v126 offset1:196
	s_waitcnt lgkmcnt(1)
	v_lshrrev_b32_e32 v182, 16, v38
	v_mul_f16_sdwa v183, v32, v38 dst_sel:DWORD dst_unused:UNUSED_PAD src0_sel:WORD_1 src1_sel:DWORD
	v_fma_f16 v183, v32, v182, -v183
	v_mul_f16_sdwa v182, v32, v182 dst_sel:DWORD dst_unused:UNUSED_PAD src0_sel:WORD_1 src1_sel:DWORD
	v_fma_f16 v32, v32, v38, v182
	s_waitcnt lgkmcnt(0)
	v_sub_f16_e32 v38, v33, v181
	v_lshrrev_b32_e32 v181, 16, v33
	v_sub_f16_e32 v35, v181, v35
	v_sub_f16_e32 v139, v32, v139
	;; [unrolled: 1-line block ×3, first 2 shown]
	v_fma_f16 v181, v181, 2.0, -v35
	v_fma_f16 v32, v32, 2.0, -v139
	;; [unrolled: 1-line block ×4, first 2 shown]
	v_sub_f16_e32 v183, v33, v32
	v_sub_f16_e32 v182, v181, v182
	v_fma_f16 v32, v33, 2.0, -v183
	v_fma_f16 v33, v181, 2.0, -v182
	v_add_f16_e32 v184, v38, v36
	v_sub_f16_e32 v139, v35, v139
	v_pack_b32_f16 v181, v32, v33
	v_fma_f16 v32, v38, 2.0, -v184
	v_fma_f16 v33, v35, 2.0, -v139
	v_pack_b32_f16 v38, v32, v33
	ds_read2_b32 v[32:33], v113 offset0:8 offset1:204
	ds_read2_b32 v[35:36], v133 offset0:16 offset1:212
	s_waitcnt lgkmcnt(0)
	s_barrier
	ds_write2_b32 v142, v181, v38 offset1:7
	v_pack_b32_f16 v38, v183, v182
	v_pack_b32_f16 v139, v184, v139
	ds_write2_b32 v142, v38, v139 offset0:14 offset1:21
	v_lshrrev_b32_e32 v139, 16, v34
	v_sub_f16_e32 v38, v34, v140
	v_sub_f16_e32 v140, v139, v141
	v_sub_f16_e32 v141, v84, v147
	v_sub_f16_e32 v142, v143, v166
	v_fma_f16 v34, v34, 2.0, -v38
	v_fma_f16 v139, v139, 2.0, -v140
	v_fma_f16 v84, v84, 2.0, -v141
	v_fma_f16 v143, v143, 2.0, -v142
	v_sub_f16_e32 v84, v34, v84
	v_sub_f16_e32 v143, v139, v143
	v_fma_f16 v34, v34, 2.0, -v84
	v_fma_f16 v139, v139, 2.0, -v143
	v_pack_b32_f16 v34, v34, v139
	v_add_f16_e32 v139, v38, v142
	v_sub_f16_e32 v141, v140, v141
	v_fma_f16 v38, v38, 2.0, -v139
	v_fma_f16 v140, v140, 2.0, -v141
	v_pack_b32_f16 v38, v38, v140
	ds_write2_b32 v144, v34, v38 offset1:7
	v_pack_b32_f16 v34, v84, v143
	v_pack_b32_f16 v38, v139, v141
	ds_write2_b32 v144, v34, v38 offset0:14 offset1:21
	v_lshrrev_b32_e32 v38, 16, v32
	v_sub_f16_e32 v34, v32, v169
	v_sub_f16_e32 v84, v38, v148
	v_sub_f16_e32 v139, v167, v168
	v_sub_f16_e32 v46, v85, v46
	v_fma_f16 v38, v38, 2.0, -v84
	v_fma_f16 v140, v167, 2.0, -v139
	v_fma_f16 v85, v85, 2.0, -v46
	v_fma_f16 v32, v32, 2.0, -v34
	v_sub_f16_e32 v140, v32, v140
	v_sub_f16_e32 v85, v38, v85
	v_fma_f16 v32, v32, 2.0, -v140
	v_fma_f16 v38, v38, 2.0, -v85
	v_pack_b32_f16 v32, v32, v38
	v_add_f16_e32 v38, v34, v46
	v_sub_f16_e32 v46, v84, v139
	v_fma_f16 v34, v34, 2.0, -v38
	v_fma_f16 v84, v84, 2.0, -v46
	v_pack_b32_f16 v34, v34, v84
	;; [unrolled: 23-line block ×4, first 2 shown]
	ds_write2_b32 v157, v33, v32 offset1:7
	v_pack_b32_f16 v32, v40, v44
	v_pack_b32_f16 v33, v35, v38
	ds_write2_b32 v157, v32, v33 offset0:14 offset1:21
	v_sub_f16_e32 v32, v36, v175
	v_lshrrev_b32_e32 v33, 16, v36
	v_fma_f16 v34, v36, 2.0, -v32
	v_sub_f16_e32 v35, v33, v42
	v_sub_f16_e32 v36, v41, v43
	;; [unrolled: 1-line block ×3, first 2 shown]
	v_fma_f16 v33, v33, 2.0, -v35
	v_fma_f16 v39, v41, 2.0, -v36
	;; [unrolled: 1-line block ×3, first 2 shown]
	v_sub_f16_e32 v39, v34, v39
	v_sub_f16_e32 v40, v33, v40
	v_fma_f16 v34, v34, 2.0, -v39
	v_fma_f16 v33, v33, 2.0, -v40
	v_pack_b32_f16 v33, v34, v33
	v_add_f16_e32 v34, v32, v38
	v_sub_f16_e32 v36, v35, v36
	v_fma_f16 v32, v32, 2.0, -v34
	v_fma_f16 v35, v35, 2.0, -v36
	v_pack_b32_f16 v32, v32, v35
	ds_write2_b32 v162, v33, v32 offset1:7
	v_pack_b32_f16 v32, v39, v40
	v_pack_b32_f16 v33, v34, v36
	ds_write2_b32 v162, v32, v33 offset0:14 offset1:21
	v_sub_f16_e32 v32, v37, v51
	v_lshrrev_b32_e32 v33, 16, v37
	v_fma_f16 v34, v37, 2.0, -v32
	v_sub_f16_e32 v35, v33, v180
	v_sub_f16_e32 v36, v178, v179
	;; [unrolled: 1-line block ×3, first 2 shown]
	v_fma_f16 v33, v33, 2.0, -v35
	v_fma_f16 v38, v178, 2.0, -v36
	;; [unrolled: 1-line block ×3, first 2 shown]
	v_sub_f16_e32 v38, v34, v38
	v_sub_f16_e32 v39, v33, v39
	v_fma_f16 v34, v34, 2.0, -v38
	v_fma_f16 v33, v33, 2.0, -v39
	v_pack_b32_f16 v33, v34, v33
	v_add_f16_e32 v34, v32, v37
	v_sub_f16_e32 v36, v35, v36
	v_fma_f16 v32, v32, 2.0, -v34
	v_fma_f16 v35, v35, 2.0, -v36
	v_pack_b32_f16 v32, v32, v35
	ds_write2_b32 v161, v33, v32 offset1:7
	v_pack_b32_f16 v32, v38, v39
	v_pack_b32_f16 v33, v34, v36
	ds_write2_b32 v161, v32, v33 offset0:14 offset1:21
	s_waitcnt lgkmcnt(0)
	s_barrier
	ds_read2_b32 v[32:33], v133 offset0:16 offset1:212
	ds_read2_b32 v[34:35], v131 offset0:32 offset1:228
	;; [unrolled: 1-line block ×5, first 2 shown]
	s_waitcnt lgkmcnt(4)
	v_lshrrev_b32_e32 v36, 16, v32
	v_mul_f16_sdwa v37, v0, v32 dst_sel:DWORD dst_unused:UNUSED_PAD src0_sel:WORD_1 src1_sel:DWORD
	v_fma_f16 v49, v0, v36, -v37
	v_mul_f16_sdwa v36, v0, v36 dst_sel:DWORD dst_unused:UNUSED_PAD src0_sel:WORD_1 src1_sel:DWORD
	v_fma_f16 v50, v0, v32, v36
	s_waitcnt lgkmcnt(3)
	v_lshrrev_b32_e32 v0, 16, v34
	v_mul_f16_sdwa v32, v1, v34 dst_sel:DWORD dst_unused:UNUSED_PAD src0_sel:WORD_1 src1_sel:DWORD
	v_fma_f16 v51, v1, v0, -v32
	v_mul_f16_sdwa v0, v1, v0 dst_sel:DWORD dst_unused:UNUSED_PAD src0_sel:WORD_1 src1_sel:DWORD
	v_fma_f16 v52, v1, v34, v0
	ds_read2_b32 v[0:1], v129 offset1:196
	s_waitcnt lgkmcnt(3)
	v_lshrrev_b32_e32 v32, 16, v40
	v_mul_f16_sdwa v34, v2, v40 dst_sel:DWORD dst_unused:UNUSED_PAD src0_sel:WORD_1 src1_sel:DWORD
	v_fma_f16 v84, v2, v32, -v34
	v_mul_f16_sdwa v32, v2, v32 dst_sel:DWORD dst_unused:UNUSED_PAD src0_sel:WORD_1 src1_sel:DWORD
	v_fma_f16 v85, v2, v40, v32
	s_waitcnt lgkmcnt(0)
	v_lshrrev_b32_e32 v2, 16, v0
	v_mul_f16_sdwa v32, v3, v0 dst_sel:DWORD dst_unused:UNUSED_PAD src0_sel:WORD_1 src1_sel:DWORD
	v_fma_f16 v139, v3, v2, -v32
	v_mul_f16_sdwa v2, v3, v2 dst_sel:DWORD dst_unused:UNUSED_PAD src0_sel:WORD_1 src1_sel:DWORD
	v_fma_f16 v140, v3, v0, v2
	v_lshrrev_b32_e32 v0, 16, v33
	v_mul_f16_sdwa v2, v20, v0 dst_sel:DWORD dst_unused:UNUSED_PAD src0_sel:WORD_1 src1_sel:DWORD
	v_fma_f16 v36, v20, v33, v2
	v_mul_f16_sdwa v2, v20, v33 dst_sel:DWORD dst_unused:UNUSED_PAD src0_sel:WORD_1 src1_sel:DWORD
	v_fma_f16 v37, v20, v0, -v2
	v_lshrrev_b32_e32 v0, 16, v35
	v_mul_f16_sdwa v2, v21, v0 dst_sel:DWORD dst_unused:UNUSED_PAD src0_sel:WORD_1 src1_sel:DWORD
	v_fma_f16 v38, v21, v35, v2
	v_mul_f16_sdwa v2, v21, v35 dst_sel:DWORD dst_unused:UNUSED_PAD src0_sel:WORD_1 src1_sel:DWORD
	v_fma_f16 v39, v21, v0, -v2
	v_lshrrev_b32_e32 v0, 16, v41
	v_mul_f16_sdwa v2, v22, v0 dst_sel:DWORD dst_unused:UNUSED_PAD src0_sel:WORD_1 src1_sel:DWORD
	v_fma_f16 v40, v22, v41, v2
	v_mul_f16_sdwa v2, v22, v41 dst_sel:DWORD dst_unused:UNUSED_PAD src0_sel:WORD_1 src1_sel:DWORD
	v_fma_f16 v41, v22, v0, -v2
	ds_read2_b32 v[2:3], v111 offset0:24 offset1:220
	v_lshrrev_b32_e32 v0, 16, v1
	ds_read2_b32 v[33:34], v109 offset0:40 offset1:236
	v_mul_f16_sdwa v20, v23, v0 dst_sel:DWORD dst_unused:UNUSED_PAD src0_sel:WORD_1 src1_sel:DWORD
	v_fma_f16 v42, v23, v1, v20
	v_mul_f16_sdwa v1, v23, v1 dst_sel:DWORD dst_unused:UNUSED_PAD src0_sel:WORD_1 src1_sel:DWORD
	v_fma_f16 v43, v23, v0, -v1
	s_waitcnt lgkmcnt(1)
	v_lshrrev_b32_e32 v0, 16, v2
	v_mul_f16_sdwa v1, v16, v2 dst_sel:DWORD dst_unused:UNUSED_PAD src0_sel:WORD_1 src1_sel:DWORD
	v_fma_f16 v20, v16, v0, -v1
	v_mul_f16_sdwa v0, v16, v0 dst_sel:DWORD dst_unused:UNUSED_PAD src0_sel:WORD_1 src1_sel:DWORD
	v_fma_f16 v16, v16, v2, v0
	s_waitcnt lgkmcnt(0)
	v_lshrrev_b32_e32 v0, 16, v33
	v_mul_f16_sdwa v1, v17, v33 dst_sel:DWORD dst_unused:UNUSED_PAD src0_sel:WORD_1 src1_sel:DWORD
	v_fma_f16 v21, v17, v0, -v1
	v_mul_f16_sdwa v0, v17, v0 dst_sel:DWORD dst_unused:UNUSED_PAD src0_sel:WORD_1 src1_sel:DWORD
	v_fma_f16 v17, v17, v33, v0
	v_lshrrev_b32_e32 v0, 16, v44
	v_mul_f16_sdwa v1, v18, v44 dst_sel:DWORD dst_unused:UNUSED_PAD src0_sel:WORD_1 src1_sel:DWORD
	v_fma_f16 v22, v18, v0, -v1
	v_mul_f16_sdwa v0, v18, v0 dst_sel:DWORD dst_unused:UNUSED_PAD src0_sel:WORD_1 src1_sel:DWORD
	v_fma_f16 v18, v18, v44, v0
	v_lshrrev_b32_e32 v0, 16, v46
	v_mul_f16_sdwa v1, v19, v46 dst_sel:DWORD dst_unused:UNUSED_PAD src0_sel:WORD_1 src1_sel:DWORD
	v_fma_f16 v23, v19, v0, -v1
	v_mul_f16_sdwa v0, v19, v0 dst_sel:DWORD dst_unused:UNUSED_PAD src0_sel:WORD_1 src1_sel:DWORD
	v_lshrrev_b32_e32 v1, 16, v3
	v_fma_f16 v33, v19, v46, v0
	v_mul_f16_sdwa v0, v12, v1 dst_sel:DWORD dst_unused:UNUSED_PAD src0_sel:WORD_1 src1_sel:DWORD
	v_fma_f16 v0, v12, v3, v0
	v_mul_f16_sdwa v2, v12, v3 dst_sel:DWORD dst_unused:UNUSED_PAD src0_sel:WORD_1 src1_sel:DWORD
	v_lshrrev_b32_e32 v3, 16, v34
	v_fma_f16 v1, v12, v1, -v2
	v_mul_f16_sdwa v2, v13, v3 dst_sel:DWORD dst_unused:UNUSED_PAD src0_sel:WORD_1 src1_sel:DWORD
	v_mul_f16_sdwa v12, v13, v34 dst_sel:DWORD dst_unused:UNUSED_PAD src0_sel:WORD_1 src1_sel:DWORD
	v_fma_f16 v2, v13, v34, v2
	v_fma_f16 v3, v13, v3, -v12
	v_lshrrev_b32_e32 v13, 16, v45
	ds_read2_b32 v[34:35], v128 offset0:16 offset1:212
	v_mul_f16_sdwa v12, v14, v13 dst_sel:DWORD dst_unused:UNUSED_PAD src0_sel:WORD_1 src1_sel:DWORD
	v_fma_f16 v12, v14, v45, v12
	v_mul_f16_sdwa v19, v14, v45 dst_sel:DWORD dst_unused:UNUSED_PAD src0_sel:WORD_1 src1_sel:DWORD
	ds_read2_b32 v[44:45], v127 offset0:32 offset1:228
	v_fma_f16 v13, v14, v13, -v19
	v_lshrrev_b32_e32 v19, 16, v47
	v_mul_f16_sdwa v14, v15, v19 dst_sel:DWORD dst_unused:UNUSED_PAD src0_sel:WORD_1 src1_sel:DWORD
	v_mul_f16_sdwa v32, v15, v47 dst_sel:DWORD dst_unused:UNUSED_PAD src0_sel:WORD_1 src1_sel:DWORD
	v_fma_f16 v14, v15, v47, v14
	v_fma_f16 v15, v15, v19, -v32
	s_waitcnt lgkmcnt(1)
	v_lshrrev_b32_e32 v19, 16, v34
	v_mul_f16_sdwa v32, v72, v34 dst_sel:DWORD dst_unused:UNUSED_PAD src0_sel:WORD_1 src1_sel:DWORD
	v_fma_f16 v141, v72, v19, -v32
	v_mul_f16_sdwa v19, v72, v19 dst_sel:DWORD dst_unused:UNUSED_PAD src0_sel:WORD_1 src1_sel:DWORD
	v_fma_f16 v72, v72, v34, v19
	s_waitcnt lgkmcnt(0)
	v_lshrrev_b32_e32 v19, 16, v44
	v_mul_f16_sdwa v32, v73, v44 dst_sel:DWORD dst_unused:UNUSED_PAD src0_sel:WORD_1 src1_sel:DWORD
	v_fma_f16 v142, v73, v19, -v32
	v_mul_f16_sdwa v19, v73, v19 dst_sel:DWORD dst_unused:UNUSED_PAD src0_sel:WORD_1 src1_sel:DWORD
	v_fma_f16 v73, v73, v44, v19
	v_lshrrev_b32_e32 v19, 16, v35
	v_mul_f16_sdwa v32, v78, v19 dst_sel:DWORD dst_unused:UNUSED_PAD src0_sel:WORD_1 src1_sel:DWORD
	v_fma_f16 v143, v78, v35, v32
	v_mul_f16_sdwa v32, v78, v35 dst_sel:DWORD dst_unused:UNUSED_PAD src0_sel:WORD_1 src1_sel:DWORD
	ds_read2_b32 v[34:35], v105 offset0:24 offset1:220
	v_fma_f16 v78, v78, v19, -v32
	v_lshrrev_b32_e32 v19, 16, v45
	ds_read2_b32 v[47:48], v102 offset0:40 offset1:236
	v_mul_f16_sdwa v32, v79, v19 dst_sel:DWORD dst_unused:UNUSED_PAD src0_sel:WORD_1 src1_sel:DWORD
	v_fma_f16 v144, v79, v45, v32
	v_mul_f16_sdwa v32, v79, v45 dst_sel:DWORD dst_unused:UNUSED_PAD src0_sel:WORD_1 src1_sel:DWORD
	v_fma_f16 v79, v79, v19, -v32
	s_waitcnt lgkmcnt(1)
	v_lshrrev_b32_e32 v19, 16, v34
	v_mul_f16_sdwa v32, v82, v34 dst_sel:DWORD dst_unused:UNUSED_PAD src0_sel:WORD_1 src1_sel:DWORD
	v_fma_f16 v44, v82, v19, -v32
	v_mul_f16_sdwa v19, v82, v19 dst_sel:DWORD dst_unused:UNUSED_PAD src0_sel:WORD_1 src1_sel:DWORD
	v_fma_f16 v45, v82, v34, v19
	s_waitcnt lgkmcnt(0)
	v_lshrrev_b32_e32 v19, 16, v47
	v_mul_f16_sdwa v32, v83, v47 dst_sel:DWORD dst_unused:UNUSED_PAD src0_sel:WORD_1 src1_sel:DWORD
	v_fma_f16 v46, v83, v19, -v32
	v_mul_f16_sdwa v19, v83, v19 dst_sel:DWORD dst_unused:UNUSED_PAD src0_sel:WORD_1 src1_sel:DWORD
	v_lshrrev_b32_e32 v32, 16, v35
	v_fma_f16 v82, v83, v47, v19
	v_mul_f16_sdwa v19, v80, v32 dst_sel:DWORD dst_unused:UNUSED_PAD src0_sel:WORD_1 src1_sel:DWORD
	v_fma_f16 v19, v80, v35, v19
	v_mul_f16_sdwa v34, v80, v35 dst_sel:DWORD dst_unused:UNUSED_PAD src0_sel:WORD_1 src1_sel:DWORD
	v_lshrrev_b32_e32 v35, 16, v48
	v_fma_f16 v32, v80, v32, -v34
	v_mul_f16_sdwa v34, v81, v35 dst_sel:DWORD dst_unused:UNUSED_PAD src0_sel:WORD_1 src1_sel:DWORD
	v_mul_f16_sdwa v47, v81, v48 dst_sel:DWORD dst_unused:UNUSED_PAD src0_sel:WORD_1 src1_sel:DWORD
	v_fma_f16 v34, v81, v48, v34
	v_fma_f16 v35, v81, v35, -v47
	ds_read2_b32 v[47:48], v126 offset1:196
	v_add_f16_e32 v80, v50, v73
	v_add_f16_e32 v81, v49, v142
	v_sub_f16_e32 v83, v49, v142
	v_add_f16_e32 v142, v52, v72
	v_sub_f16_e32 v52, v52, v72
	v_add_f16_e32 v72, v51, v141
	v_sub_f16_e32 v73, v50, v73
	v_add_f16_e32 v49, v85, v140
	v_sub_f16_e32 v50, v140, v85
	v_add_f16_e32 v85, v84, v139
	v_sub_f16_e32 v84, v139, v84
	v_add_f16_e32 v139, v142, v80
	v_add_f16_e32 v140, v72, v81
	;; [unrolled: 1-line block ×4, first 2 shown]
	v_sub_f16_e32 v51, v51, v141
	s_waitcnt lgkmcnt(0)
	v_add_f16_e32 v141, v47, v139
	v_add_f16_sdwa v47, v47, v140 dst_sel:DWORD dst_unused:UNUSED_PAD src0_sel:WORD_1 src1_sel:DWORD
	v_fma_f16 v139, v139, s6, v141
	v_fma_f16 v140, v140, s6, v47
	v_pack_b32_f16 v47, v141, v47
	v_sub_f16_e32 v141, v80, v49
	v_sub_f16_e32 v145, v49, v142
	;; [unrolled: 1-line block ×3, first 2 shown]
	v_mul_f16_e32 v141, 0x3a52, v141
	v_sub_f16_e32 v85, v85, v72
	v_sub_f16_e32 v147, v50, v52
	v_mul_f16_e32 v162, 0x3a52, v49
	v_fma_f16 v49, v145, s0, v141
	v_add_f16_e32 v146, v50, v52
	v_sub_f16_e32 v148, v73, v50
	v_sub_f16_e32 v157, v84, v51
	v_mul_f16_e32 v147, 0x3846, v147
	v_add_f16_e32 v166, v49, v139
	v_fma_f16 v49, v85, s0, v162
	v_add_f16_e32 v50, v84, v51
	v_sub_f16_e32 v84, v83, v84
	v_add_f16_e32 v146, v146, v73
	v_mul_f16_e32 v157, 0x3846, v157
	v_add_f16_e32 v167, v49, v140
	v_fma_f16 v49, v148, s13, v147
	v_add_f16_e32 v161, v50, v83
	v_fma_f16 v168, v146, s2, v49
	v_fma_f16 v49, v84, s13, v157
	;; [unrolled: 1-line block ×3, first 2 shown]
	v_add_f16_e32 v49, v169, v166
	v_sub_f16_e32 v50, v167, v168
	v_pack_b32_f16 v170, v49, v50
	v_sub_f16_e32 v52, v52, v73
	v_sub_f16_e32 v51, v51, v83
	ds_read2_b32 v[49:50], v113 offset0:8 offset1:204
	s_waitcnt lgkmcnt(0)
	s_barrier
	ds_write2_b32 v152, v47, v170 offset1:28
	v_sub_f16_e32 v47, v142, v80
	v_sub_f16_e32 v72, v72, v81
	v_mul_f16_e32 v73, 0x2b26, v145
	v_mul_f16_e32 v80, 0x2b26, v85
	v_fma_f16 v81, v52, s3, -v147
	v_mul_f16_e32 v52, 0x3b00, v52
	v_fma_f16 v83, v51, s3, -v157
	v_mul_f16_e32 v51, 0x3b00, v51
	v_fma_f16 v73, v47, s7, -v73
	v_fma_f16 v47, v47, s12, -v141
	v_fma_f16 v80, v72, s7, -v80
	;; [unrolled: 1-line block ×3, first 2 shown]
	v_fma_f16 v52, v148, s1, v52
	v_fma_f16 v51, v84, s1, v51
	v_add_f16_e32 v47, v47, v139
	v_add_f16_e32 v72, v72, v140
	v_fma_f16 v52, v146, s2, v52
	v_fma_f16 v51, v161, s2, v51
	v_add_f16_e32 v73, v73, v139
	v_add_f16_e32 v80, v80, v140
	v_fma_f16 v81, v146, s2, v81
	v_fma_f16 v83, v161, s2, v83
	v_add_f16_e32 v84, v51, v47
	v_sub_f16_e32 v85, v72, v52
	v_pack_b32_f16 v84, v84, v85
	v_sub_f16_e32 v85, v73, v83
	v_add_f16_e32 v139, v81, v80
	v_add_f16_e32 v73, v83, v73
	v_sub_f16_e32 v80, v80, v81
	v_sub_f16_e32 v47, v47, v51
	v_add_f16_e32 v51, v52, v72
	v_pack_b32_f16 v52, v73, v80
	v_pack_b32_f16 v47, v47, v51
	ds_write2_b32 v152, v52, v47 offset0:112 offset1:140
	v_sub_f16_e32 v47, v166, v169
	v_add_f16_e32 v51, v168, v167
	v_pack_b32_f16 v47, v47, v51
	ds_write_b32 v152, v47 offset:672
	v_add_f16_e32 v47, v36, v144
	v_add_f16_e32 v51, v37, v79
	;; [unrolled: 1-line block ×4, first 2 shown]
	v_sub_f16_e32 v39, v39, v78
	v_add_f16_e32 v73, v40, v42
	v_sub_f16_e32 v40, v42, v40
	v_add_f16_e32 v42, v41, v43
	;; [unrolled: 2-line block ×3, first 2 shown]
	v_add_f16_e32 v78, v72, v51
	v_add_f16_e32 v43, v73, v43
	;; [unrolled: 1-line block ×3, first 2 shown]
	v_pack_b32_f16 v85, v85, v139
	v_sub_f16_e32 v37, v37, v79
	v_sub_f16_e32 v38, v38, v143
	v_add_f16_e32 v79, v48, v43
	v_add_f16_sdwa v48, v48, v78 dst_sel:DWORD dst_unused:UNUSED_PAD src0_sel:WORD_1 src1_sel:DWORD
	ds_write2_b32 v152, v84, v85 offset0:56 offset1:84
	v_sub_f16_e32 v36, v36, v144
	v_fma_f16 v43, v43, s6, v79
	v_fma_f16 v78, v78, s6, v48
	v_pack_b32_f16 v48, v79, v48
	v_sub_f16_e32 v79, v47, v73
	v_sub_f16_e32 v80, v51, v42
	;; [unrolled: 1-line block ×6, first 2 shown]
	v_add_f16_e32 v81, v40, v38
	v_sub_f16_e32 v40, v36, v40
	v_add_f16_e32 v84, v41, v39
	v_sub_f16_e32 v41, v37, v41
	v_mul_f16_e32 v79, 0x3a52, v79
	v_mul_f16_e32 v80, 0x3a52, v80
	;; [unrolled: 1-line block ×4, first 2 shown]
	v_add_f16_e32 v81, v81, v36
	v_add_f16_e32 v84, v84, v37
	v_fma_f16 v139, v73, s0, v79
	v_fma_f16 v140, v42, s0, v80
	;; [unrolled: 1-line block ×4, first 2 shown]
	v_add_f16_e32 v139, v139, v43
	v_add_f16_e32 v140, v140, v78
	v_fma_f16 v141, v81, s2, v141
	v_fma_f16 v142, v84, s2, v142
	v_add_f16_e32 v143, v142, v139
	v_sub_f16_e32 v144, v140, v141
	v_pack_b32_f16 v143, v143, v144
	ds_write2_b32 v165, v48, v143 offset1:28
	v_sub_f16_e32 v47, v52, v47
	v_sub_f16_e32 v48, v72, v51
	;; [unrolled: 1-line block ×3, first 2 shown]
	v_mul_f16_e32 v38, 0x2b26, v73
	v_mul_f16_e32 v42, 0x2b26, v42
	v_sub_f16_e32 v37, v39, v37
	v_fma_f16 v38, v47, s7, -v38
	v_fma_f16 v39, v47, s12, -v79
	;; [unrolled: 1-line block ×5, first 2 shown]
	v_mul_f16_e32 v36, 0x3b00, v36
	v_fma_f16 v36, v40, s1, v36
	v_fma_f16 v40, v37, s3, -v85
	v_mul_f16_e32 v37, 0x3b00, v37
	v_fma_f16 v37, v41, s1, v37
	v_add_f16_e32 v39, v39, v43
	v_add_f16_e32 v41, v42, v78
	;; [unrolled: 1-line block ×3, first 2 shown]
	v_fma_f16 v36, v81, s2, v36
	v_fma_f16 v37, v84, s2, v37
	v_add_f16_e32 v38, v38, v43
	v_fma_f16 v43, v81, s2, v48
	v_fma_f16 v40, v84, s2, v40
	v_add_f16_e32 v47, v37, v39
	v_sub_f16_e32 v48, v42, v36
	v_pack_b32_f16 v47, v47, v48
	v_sub_f16_e32 v48, v38, v40
	v_add_f16_e32 v38, v40, v38
	v_sub_f16_e32 v40, v41, v43
	v_sub_f16_e32 v37, v39, v37
	v_add_f16_e32 v36, v36, v42
	v_pack_b32_f16 v38, v38, v40
	v_pack_b32_f16 v36, v37, v36
	ds_write2_b32 v165, v38, v36 offset0:112 offset1:140
	v_sub_f16_e32 v36, v139, v142
	v_add_f16_e32 v37, v141, v140
	v_pack_b32_f16 v36, v36, v37
	ds_write_b32 v165, v36 offset:672
	v_add_f16_e32 v36, v16, v82
	v_add_f16_e32 v37, v20, v46
	v_add_f16_e32 v38, v17, v45
	v_add_f16_e32 v39, v21, v44
	v_add_f16_e32 v51, v43, v41
	v_add_f16_e32 v40, v18, v33
	v_sub_f16_e32 v18, v33, v18
	v_add_f16_e32 v33, v22, v23
	v_sub_f16_e32 v22, v23, v22
	v_add_f16_e32 v23, v38, v36
	v_add_f16_e32 v41, v39, v37
	;; [unrolled: 1-line block ×4, first 2 shown]
	v_pack_b32_f16 v48, v48, v51
	v_sub_f16_e32 v17, v17, v45
	v_sub_f16_e32 v21, v21, v44
	v_add_f16_e32 v42, v49, v23
	v_add_f16_sdwa v43, v49, v41 dst_sel:DWORD dst_unused:UNUSED_PAD src0_sel:WORD_1 src1_sel:DWORD
	v_sub_f16_e32 v44, v37, v33
	ds_write2_b32 v165, v47, v48 offset0:56 offset1:84
	v_sub_f16_e32 v16, v16, v82
	v_sub_f16_e32 v20, v20, v46
	v_fma_f16 v23, v23, s6, v42
	v_fma_f16 v41, v41, s6, v43
	v_pack_b32_f16 v42, v42, v43
	v_sub_f16_e32 v43, v36, v40
	v_sub_f16_e32 v40, v40, v38
	v_sub_f16_e32 v33, v33, v39
	v_add_f16_e32 v45, v18, v17
	v_sub_f16_e32 v46, v18, v17
	v_add_f16_e32 v47, v22, v21
	v_mul_f16_e32 v44, 0x3a52, v44
	v_sub_f16_e32 v18, v16, v18
	v_sub_f16_e32 v48, v22, v21
	;; [unrolled: 1-line block ×3, first 2 shown]
	v_add_f16_e32 v45, v45, v16
	v_add_f16_e32 v47, v47, v20
	v_mul_f16_e32 v43, 0x3a52, v43
	v_mul_f16_e32 v46, 0x3846, v46
	v_fma_f16 v51, v33, s0, v44
	v_sub_f16_e32 v36, v38, v36
	v_sub_f16_e32 v37, v39, v37
	;; [unrolled: 1-line block ×4, first 2 shown]
	v_mul_f16_e32 v20, 0x2b26, v40
	v_mul_f16_e32 v33, 0x2b26, v33
	v_mul_f16_e32 v48, 0x3846, v48
	v_fma_f16 v20, v36, s7, -v20
	v_fma_f16 v21, v36, s12, -v43
	;; [unrolled: 1-line block ×5, first 2 shown]
	v_mul_f16_e32 v16, 0x3b00, v16
	v_fma_f16 v52, v18, s13, v46
	v_fma_f16 v16, v18, s1, v16
	v_fma_f16 v18, v17, s3, -v48
	v_mul_f16_e32 v17, 0x3b00, v17
	v_fma_f16 v49, v40, s0, v43
	v_fma_f16 v17, v22, s1, v17
	v_add_f16_e32 v49, v49, v23
	v_add_f16_e32 v20, v20, v23
	;; [unrolled: 1-line block ×4, first 2 shown]
	v_fma_f16 v16, v45, s2, v16
	v_fma_f16 v17, v47, s2, v17
	;; [unrolled: 1-line block ×3, first 2 shown]
	v_add_f16_e32 v22, v33, v41
	v_fma_f16 v33, v45, s2, v37
	v_fma_f16 v18, v47, s2, v18
	v_add_f16_e32 v36, v17, v21
	v_sub_f16_e32 v37, v23, v16
	v_pack_b32_f16 v36, v36, v37
	v_sub_f16_e32 v37, v20, v18
	v_add_f16_e32 v38, v33, v22
	v_add_f16_e32 v16, v16, v23
	;; [unrolled: 1-line block ×3, first 2 shown]
	v_sub_f16_e32 v0, v0, v34
	v_add_f16_e32 v34, v2, v19
	v_sub_f16_e32 v2, v2, v19
	v_add_f16_e32 v19, v3, v32
	;; [unrolled: 2-line block ×3, first 2 shown]
	v_pack_b32_f16 v37, v37, v38
	v_add_f16_e32 v18, v18, v20
	v_sub_f16_e32 v20, v22, v33
	v_add_f16_e32 v33, v1, v35
	v_sub_f16_e32 v1, v1, v35
	v_sub_f16_e32 v12, v14, v12
	v_add_f16_e32 v14, v13, v15
	v_sub_f16_e32 v13, v15, v13
	v_add_f16_e32 v15, v34, v23
	v_sub_f16_e32 v35, v34, v23
	v_sub_f16_e32 v23, v23, v32
	;; [unrolled: 1-line block ×3, first 2 shown]
	ds_write2_b32 v151, v36, v37 offset0:56 offset1:84
	v_add_f16_e32 v15, v32, v15
	v_add_f16_e32 v32, v19, v33
	v_sub_f16_e32 v36, v19, v33
	v_sub_f16_e32 v33, v33, v14
	;; [unrolled: 1-line block ×3, first 2 shown]
	v_mul_f16_e32 v23, 0x3a52, v23
	v_mul_f16_e32 v40, 0x2b26, v34
	v_add_f16_e32 v14, v14, v32
	v_add_f16_e32 v32, v12, v2
	v_sub_f16_e32 v37, v12, v2
	v_sub_f16_e32 v2, v2, v0
	v_fma_f16 v34, v34, s0, v23
	v_fma_f16 v40, v35, s7, -v40
	v_fma_f16 v23, v35, s12, -v23
	v_mul_f16_e32 v33, 0x3a52, v33
	v_mul_f16_e32 v35, 0x2b26, v19
	v_sub_f16_e32 v12, v0, v12
	v_add_f16_e32 v0, v32, v0
	v_add_f16_e32 v32, v13, v3
	v_sub_f16_e32 v38, v13, v3
	v_sub_f16_e32 v3, v3, v1
	v_fma_f16 v19, v19, s0, v33
	v_fma_f16 v35, v36, s7, -v35
	v_fma_f16 v33, v36, s12, -v33
	v_mul_f16_e32 v36, 0x3846, v37
	v_mul_f16_e32 v37, 0x3b00, v2
	v_sub_f16_e32 v13, v1, v13
	v_add_f16_e32 v1, v32, v1
	v_add_f16_e32 v32, v50, v15
	v_add_f16_sdwa v39, v50, v14 dst_sel:DWORD dst_unused:UNUSED_PAD src0_sel:WORD_1 src1_sel:DWORD
	v_fma_f16 v2, v2, s3, -v36
	v_fma_f16 v36, v12, s13, v36
	v_fma_f16 v12, v12, s1, v37
	v_mul_f16_e32 v37, 0x3846, v38
	v_mul_f16_e32 v38, 0x3b00, v3
	v_add_f16_e32 v51, v51, v41
	v_fma_f16 v52, v45, s2, v52
	v_fma_f16 v72, v47, s2, v72
	v_sub_f16_e32 v17, v21, v17
	v_fma_f16 v3, v3, s3, -v37
	v_fma_f16 v37, v13, s13, v37
	v_fma_f16 v13, v13, s1, v38
	;; [unrolled: 1-line block ×4, first 2 shown]
	v_sub_f16_e32 v21, v49, v72
	v_add_f16_e32 v22, v52, v51
	v_add_f16_e32 v34, v34, v15
	v_add_f16_e32 v38, v40, v15
	v_add_f16_e32 v15, v23, v15
	v_add_f16_e32 v19, v19, v14
	v_add_f16_e32 v23, v35, v14
	v_add_f16_e32 v14, v33, v14
	v_fma_f16 v33, v0, s2, v36
	v_fma_f16 v2, v0, s2, v2
	;; [unrolled: 1-line block ×6, first 2 shown]
	v_pack_b32_f16 v18, v18, v20
	v_pack_b32_f16 v16, v17, v16
	v_add_f16_e32 v73, v72, v49
	v_sub_f16_e32 v78, v51, v52
	v_sub_f16_e32 v13, v38, v3
	v_add_f16_e32 v3, v3, v38
	v_add_f16_e32 v35, v2, v23
	v_sub_f16_e32 v2, v23, v2
	v_add_f16_e32 v23, v1, v15
	v_sub_f16_e32 v1, v15, v1
	v_sub_f16_e32 v15, v14, v0
	v_add_f16_e32 v0, v0, v14
	v_add_f16_e32 v14, v12, v34
	v_sub_f16_e32 v12, v34, v12
	v_sub_f16_e32 v34, v19, v33
	ds_write2_b32 v151, v18, v16 offset0:112 offset1:140
	v_pack_b32_f16 v16, v21, v22
	v_pack_b32_f16 v73, v73, v78
	v_add_f16_e32 v19, v33, v19
	ds_write_b32 v151, v16 offset:672
	v_pack_b32_f16 v16, v32, v39
	v_pack_b32_f16 v14, v14, v34
	;; [unrolled: 1-line block ×4, first 2 shown]
	ds_write2_b32 v151, v42, v73 offset1:28
	ds_write2_b32 v158, v16, v14 offset1:28
	v_pack_b32_f16 v14, v23, v15
	v_pack_b32_f16 v13, v13, v35
	ds_write2_b32 v158, v2, v0 offset0:112 offset1:140
	v_pack_b32_f16 v0, v12, v19
	ds_write2_b32 v158, v14, v13 offset0:56 offset1:84
	ds_write_b32 v158, v0 offset:672
	s_waitcnt lgkmcnt(0)
	s_barrier
	ds_read2_b32 v[0:1], v131 offset0:32 offset1:228
	ds_read2_b32 v[2:3], v129 offset1:196
	ds_read2_b32 v[12:13], v105 offset0:24 offset1:220
	ds_read2_b32 v[14:15], v109 offset0:40 offset1:236
	;; [unrolled: 1-line block ×3, first 2 shown]
	s_waitcnt lgkmcnt(4)
	v_lshrrev_b32_e32 v20, 16, v1
	v_mul_f16_sdwa v34, v56, v20 dst_sel:DWORD dst_unused:UNUSED_PAD src0_sel:WORD_1 src1_sel:DWORD
	s_waitcnt lgkmcnt(3)
	v_lshrrev_b32_e32 v21, 16, v2
	v_fma_f16 v34, v56, v1, v34
	v_mul_f16_sdwa v1, v56, v1 dst_sel:DWORD dst_unused:UNUSED_PAD src0_sel:WORD_1 src1_sel:DWORD
	v_fma_f16 v20, v56, v20, -v1
	v_mul_f16_sdwa v1, v57, v21 dst_sel:DWORD dst_unused:UNUSED_PAD src0_sel:WORD_1 src1_sel:DWORD
	v_fma_f16 v35, v57, v2, v1
	v_mul_f16_sdwa v1, v57, v2 dst_sel:DWORD dst_unused:UNUSED_PAD src0_sel:WORD_1 src1_sel:DWORD
	s_waitcnt lgkmcnt(2)
	v_lshrrev_b32_e32 v22, 16, v13
	v_fma_f16 v21, v57, v21, -v1
	v_mul_f16_sdwa v1, v58, v13 dst_sel:DWORD dst_unused:UNUSED_PAD src0_sel:WORD_1 src1_sel:DWORD
	v_lshrrev_b32_e32 v32, 16, v3
	v_fma_f16 v36, v58, v22, -v1
	v_mul_f16_sdwa v1, v58, v22 dst_sel:DWORD dst_unused:UNUSED_PAD src0_sel:WORD_1 src1_sel:DWORD
	v_fma_f16 v22, v58, v13, v1
	v_mul_f16_sdwa v1, v69, v32 dst_sel:DWORD dst_unused:UNUSED_PAD src0_sel:WORD_1 src1_sel:DWORD
	v_fma_f16 v38, v69, v3, v1
	v_mul_f16_sdwa v1, v69, v3 dst_sel:DWORD dst_unused:UNUSED_PAD src0_sel:WORD_1 src1_sel:DWORD
	s_waitcnt lgkmcnt(1)
	v_lshrrev_b32_e32 v23, 16, v14
	s_waitcnt lgkmcnt(0)
	v_lshrrev_b32_e32 v33, 16, v16
	ds_read2_b32 v[18:19], v106 offset0:8 offset1:204
	v_mul_f16_sdwa v2, v68, v14 dst_sel:DWORD dst_unused:UNUSED_PAD src0_sel:WORD_1 src1_sel:DWORD
	v_fma_f16 v32, v69, v32, -v1
	v_mul_f16_sdwa v1, v70, v16 dst_sel:DWORD dst_unused:UNUSED_PAD src0_sel:WORD_1 src1_sel:DWORD
	v_lshrrev_b32_e32 v13, 16, v15
	v_fma_f16 v39, v68, v23, -v2
	v_mul_f16_sdwa v2, v68, v23 dst_sel:DWORD dst_unused:UNUSED_PAD src0_sel:WORD_1 src1_sel:DWORD
	v_fma_f16 v40, v70, v33, -v1
	v_mul_f16_sdwa v1, v70, v33 dst_sel:DWORD dst_unused:UNUSED_PAD src0_sel:WORD_1 src1_sel:DWORD
	v_fma_f16 v23, v68, v14, v2
	v_fma_f16 v16, v70, v16, v1
	v_lshrrev_b32_e32 v3, 16, v17
	v_mul_f16_sdwa v1, v65, v13 dst_sel:DWORD dst_unused:UNUSED_PAD src0_sel:WORD_1 src1_sel:DWORD
	v_mul_f16_sdwa v14, v65, v15 dst_sel:DWORD dst_unused:UNUSED_PAD src0_sel:WORD_1 src1_sel:DWORD
	v_fma_f16 v33, v65, v15, v1
	v_fma_f16 v15, v65, v13, -v14
	v_mul_f16_sdwa v13, v67, v3 dst_sel:DWORD dst_unused:UNUSED_PAD src0_sel:WORD_1 src1_sel:DWORD
	v_fma_f16 v41, v67, v17, v13
	v_mul_f16_sdwa v13, v67, v17 dst_sel:DWORD dst_unused:UNUSED_PAD src0_sel:WORD_1 src1_sel:DWORD
	s_waitcnt lgkmcnt(0)
	v_lshrrev_b32_e32 v37, 16, v18
	v_fma_f16 v42, v67, v3, -v13
	v_mul_f16_sdwa v3, v66, v18 dst_sel:DWORD dst_unused:UNUSED_PAD src0_sel:WORD_1 src1_sel:DWORD
	v_fma_f16 v43, v66, v37, -v3
	v_mul_f16_sdwa v3, v66, v37 dst_sel:DWORD dst_unused:UNUSED_PAD src0_sel:WORD_1 src1_sel:DWORD
	ds_read2_b32 v[1:2], v130 offset0:48 offset1:244
	v_fma_f16 v18, v66, v18, v3
	v_lshrrev_b32_e32 v3, 16, v19
	v_mul_f16_sdwa v13, v63, v3 dst_sel:DWORD dst_unused:UNUSED_PAD src0_sel:WORD_1 src1_sel:DWORD
	v_fma_f16 v37, v63, v19, v13
	ds_read2_b32 v[13:14], v102 offset0:40 offset1:236
	v_mul_f16_sdwa v19, v63, v19 dst_sel:DWORD dst_unused:UNUSED_PAD src0_sel:WORD_1 src1_sel:DWORD
	s_waitcnt lgkmcnt(1)
	v_lshrrev_b32_e32 v17, 16, v1
	v_fma_f16 v19, v63, v3, -v19
	v_mul_f16_sdwa v3, v62, v1 dst_sel:DWORD dst_unused:UNUSED_PAD src0_sel:WORD_1 src1_sel:DWORD
	v_fma_f16 v44, v62, v17, -v3
	v_mul_f16_sdwa v3, v62, v17 dst_sel:DWORD dst_unused:UNUSED_PAD src0_sel:WORD_1 src1_sel:DWORD
	v_fma_f16 v17, v62, v1, v3
	s_waitcnt lgkmcnt(0)
	v_lshrrev_b32_e32 v1, 16, v13
	v_mul_f16_sdwa v3, v64, v13 dst_sel:DWORD dst_unused:UNUSED_PAD src0_sel:WORD_1 src1_sel:DWORD
	v_fma_f16 v45, v64, v1, -v3
	v_mul_f16_sdwa v1, v64, v1 dst_sel:DWORD dst_unused:UNUSED_PAD src0_sel:WORD_1 src1_sel:DWORD
	v_fma_f16 v46, v64, v13, v1
	v_lshrrev_b32_e32 v1, 16, v2
	v_mul_f16_sdwa v3, v59, v1 dst_sel:DWORD dst_unused:UNUSED_PAD src0_sel:WORD_1 src1_sel:DWORD
	v_fma_f16 v47, v59, v2, v3
	v_mul_f16_sdwa v2, v59, v2 dst_sel:DWORD dst_unused:UNUSED_PAD src0_sel:WORD_1 src1_sel:DWORD
	v_fma_f16 v48, v59, v1, -v2
	ds_read2_b32 v[1:2], v128 offset0:16 offset1:212
	v_lshrrev_b32_e32 v3, 16, v14
	v_mul_f16_sdwa v13, v61, v3 dst_sel:DWORD dst_unused:UNUSED_PAD src0_sel:WORD_1 src1_sel:DWORD
	v_fma_f16 v49, v61, v14, v13
	v_mul_f16_sdwa v13, v61, v14 dst_sel:DWORD dst_unused:UNUSED_PAD src0_sel:WORD_1 src1_sel:DWORD
	v_fma_f16 v14, v61, v3, -v13
	s_waitcnt lgkmcnt(0)
	v_lshrrev_b32_e32 v3, 16, v1
	v_mul_f16_sdwa v13, v60, v1 dst_sel:DWORD dst_unused:UNUSED_PAD src0_sel:WORD_1 src1_sel:DWORD
	v_fma_f16 v50, v60, v3, -v13
	v_mul_f16_sdwa v3, v60, v3 dst_sel:DWORD dst_unused:UNUSED_PAD src0_sel:WORD_1 src1_sel:DWORD
	v_fma_f16 v51, v60, v1, v3
	v_lshrrev_b32_e32 v1, 16, v2
	v_mul_f16_sdwa v3, v55, v1 dst_sel:DWORD dst_unused:UNUSED_PAD src0_sel:WORD_1 src1_sel:DWORD
	v_fma_f16 v13, v55, v2, v3
	v_mul_f16_sdwa v2, v55, v2 dst_sel:DWORD dst_unused:UNUSED_PAD src0_sel:WORD_1 src1_sel:DWORD
	v_fma_f16 v52, v55, v1, -v2
	ds_read2_b32 v[1:2], v107 offset0:56 offset1:252
	v_lshrrev_b32_e32 v3, 16, v0
	v_mul_f16_sdwa v56, v53, v3 dst_sel:DWORD dst_unused:UNUSED_PAD src0_sel:WORD_1 src1_sel:DWORD
	v_fma_f16 v56, v53, v0, v56
	v_mul_f16_sdwa v0, v53, v0 dst_sel:DWORD dst_unused:UNUSED_PAD src0_sel:WORD_1 src1_sel:DWORD
	v_fma_f16 v57, v53, v3, -v0
	s_waitcnt lgkmcnt(0)
	v_lshrrev_b32_e32 v0, 16, v1
	v_mul_f16_sdwa v3, v54, v1 dst_sel:DWORD dst_unused:UNUSED_PAD src0_sel:WORD_1 src1_sel:DWORD
	v_fma_f16 v58, v54, v0, -v3
	v_mul_f16_sdwa v0, v54, v0 dst_sel:DWORD dst_unused:UNUSED_PAD src0_sel:WORD_1 src1_sel:DWORD
	v_fma_f16 v59, v54, v1, v0
	v_lshrrev_b32_e32 v0, 16, v2
	v_mul_f16_sdwa v1, v54, v0 dst_sel:DWORD dst_unused:UNUSED_PAD src0_sel:WORD_1 src1_sel:DWORD
	v_fma_f16 v60, v54, v2, v1
	v_mul_f16_sdwa v1, v54, v2 dst_sel:DWORD dst_unused:UNUSED_PAD src0_sel:WORD_1 src1_sel:DWORD
	v_lshrrev_b32_e32 v2, 16, v12
	v_fma_f16 v54, v54, v0, -v1
	ds_read2_b32 v[0:1], v111 offset0:24 offset1:220
	v_mul_f16_sdwa v3, v55, v2 dst_sel:DWORD dst_unused:UNUSED_PAD src0_sel:WORD_1 src1_sel:DWORD
	v_fma_f16 v61, v55, v12, v3
	v_mul_f16_sdwa v3, v55, v12 dst_sel:DWORD dst_unused:UNUSED_PAD src0_sel:WORD_1 src1_sel:DWORD
	v_fma_f16 v55, v55, v2, -v3
	ds_read2_b32 v[2:3], v126 offset1:196
	s_waitcnt lgkmcnt(1)
	v_lshrrev_b32_e32 v12, 16, v1
	v_mul_f16_sdwa v62, v53, v1 dst_sel:DWORD dst_unused:UNUSED_PAD src0_sel:WORD_1 src1_sel:DWORD
	v_fma_f16 v62, v53, v12, -v62
	v_mul_f16_sdwa v12, v53, v12 dst_sel:DWORD dst_unused:UNUSED_PAD src0_sel:WORD_1 src1_sel:DWORD
	v_fma_f16 v1, v53, v1, v12
	s_waitcnt lgkmcnt(0)
	v_lshrrev_b32_e32 v53, 16, v2
	v_sub_f16_e32 v12, v2, v59
	v_sub_f16_e32 v58, v53, v58
	;; [unrolled: 1-line block ×4, first 2 shown]
	v_fma_f16 v53, v53, 2.0, -v58
	v_fma_f16 v1, v1, 2.0, -v13
	;; [unrolled: 1-line block ×4, first 2 shown]
	v_sub_f16_e32 v62, v2, v1
	v_sub_f16_e32 v59, v53, v59
	v_fma_f16 v1, v2, 2.0, -v62
	v_fma_f16 v2, v53, 2.0, -v59
	v_add_f16_e32 v52, v12, v52
	v_sub_f16_e32 v63, v58, v13
	v_pack_b32_f16 v53, v1, v2
	v_fma_f16 v1, v12, 2.0, -v52
	v_fma_f16 v2, v58, 2.0, -v63
	v_pack_b32_f16 v58, v1, v2
	ds_read2_b32 v[1:2], v113 offset0:8 offset1:204
	ds_read2_b32 v[12:13], v133 offset0:16 offset1:212
	s_waitcnt lgkmcnt(0)
	s_barrier
	ds_write2_b32 v126, v53, v58 offset1:196
	v_pack_b32_f16 v53, v62, v59
	v_pack_b32_f16 v52, v52, v63
	ds_write2_b32 v113, v53, v52 offset0:8 offset1:204
	v_lshrrev_b32_e32 v53, 16, v3
	v_sub_f16_e32 v52, v3, v60
	v_sub_f16_e32 v54, v53, v54
	;; [unrolled: 1-line block ×4, first 2 shown]
	v_fma_f16 v3, v3, 2.0, -v52
	v_fma_f16 v53, v53, 2.0, -v54
	;; [unrolled: 1-line block ×4, first 2 shown]
	v_sub_f16_e32 v56, v3, v56
	v_sub_f16_e32 v57, v53, v57
	v_fma_f16 v3, v3, 2.0, -v56
	v_fma_f16 v53, v53, 2.0, -v57
	v_pack_b32_f16 v3, v3, v53
	v_add_f16_e32 v53, v52, v55
	v_sub_f16_e32 v55, v54, v58
	v_fma_f16 v52, v52, 2.0, -v53
	v_fma_f16 v54, v54, 2.0, -v55
	v_pack_b32_f16 v52, v52, v54
	ds_write2_b32 v133, v3, v52 offset0:16 offset1:212
	v_pack_b32_f16 v52, v53, v55
	v_lshrrev_b32_e32 v53, 16, v1
	v_pack_b32_f16 v3, v56, v57
	v_sub_f16_e32 v35, v1, v35
	v_sub_f16_e32 v21, v53, v21
	;; [unrolled: 1-line block ×4, first 2 shown]
	ds_write2_b32 v111, v3, v52 offset0:24 offset1:220
	v_lshrrev_b32_e32 v3, 16, v2
	v_fma_f16 v1, v1, 2.0, -v35
	v_fma_f16 v53, v53, 2.0, -v21
	;; [unrolled: 1-line block ×4, first 2 shown]
	v_sub_f16_e32 v38, v2, v38
	v_sub_f16_e32 v34, v1, v34
	;; [unrolled: 1-line block ×3, first 2 shown]
	v_add_f16_e32 v36, v35, v36
	v_sub_f16_e32 v22, v21, v22
	v_sub_f16_e32 v32, v3, v32
	;; [unrolled: 1-line block ×4, first 2 shown]
	v_fma_f16 v2, v2, 2.0, -v38
	v_lshrrev_b32_e32 v52, 16, v12
	v_fma_f16 v1, v1, 2.0, -v34
	v_fma_f16 v53, v53, 2.0, -v20
	;; [unrolled: 1-line block ×7, first 2 shown]
	v_sub_f16_e32 v18, v12, v18
	v_pack_b32_f16 v1, v1, v53
	v_sub_f16_e32 v23, v2, v23
	v_sub_f16_e32 v39, v3, v39
	v_add_f16_e32 v40, v38, v40
	v_sub_f16_e32 v16, v32, v16
	v_sub_f16_e32 v43, v52, v43
	;; [unrolled: 1-line block ×4, first 2 shown]
	v_pack_b32_f16 v21, v35, v21
	v_lshrrev_b32_e32 v54, 16, v13
	v_fma_f16 v12, v12, 2.0, -v18
	v_fma_f16 v2, v2, 2.0, -v23
	;; [unrolled: 1-line block ×8, first 2 shown]
	ds_write2_b32 v154, v1, v21 offset0:32 offset1:228
	v_pack_b32_f16 v1, v34, v20
	v_pack_b32_f16 v20, v36, v22
	v_sub_f16_e32 v37, v13, v37
	v_sub_f16_e32 v33, v12, v33
	;; [unrolled: 1-line block ×3, first 2 shown]
	v_add_f16_e32 v42, v18, v42
	v_sub_f16_e32 v41, v43, v41
	v_sub_f16_e32 v19, v54, v19
	;; [unrolled: 1-line block ×4, first 2 shown]
	ds_write2_b32 v153, v1, v20 offset0:40 offset1:236
	v_pack_b32_f16 v1, v2, v3
	v_pack_b32_f16 v2, v38, v32
	v_fma_f16 v13, v13, 2.0, -v37
	v_lshrrev_b32_e32 v55, 16, v0
	v_fma_f16 v12, v12, 2.0, -v33
	v_fma_f16 v52, v52, 2.0, -v15
	;; [unrolled: 1-line block ×7, first 2 shown]
	ds_write2_b32 v149, v1, v2 offset0:48 offset1:244
	v_pack_b32_f16 v1, v23, v39
	v_pack_b32_f16 v2, v40, v16
	v_sub_f16_e32 v51, v0, v51
	v_sub_f16_e32 v17, v13, v17
	;; [unrolled: 1-line block ×3, first 2 shown]
	v_add_f16_e32 v45, v37, v45
	v_sub_f16_e32 v46, v19, v46
	v_sub_f16_e32 v50, v55, v50
	;; [unrolled: 1-line block ×4, first 2 shown]
	ds_write2_b32 v150, v1, v2 offset0:56 offset1:252
	v_pack_b32_f16 v1, v12, v52
	v_pack_b32_f16 v2, v18, v43
	v_fma_f16 v0, v0, 2.0, -v51
	v_fma_f16 v13, v13, 2.0, -v17
	;; [unrolled: 1-line block ×8, first 2 shown]
	ds_write2_b32 v155, v1, v2 offset1:196
	v_pack_b32_f16 v1, v33, v15
	v_pack_b32_f16 v2, v42, v41
	v_sub_f16_e32 v47, v0, v47
	v_sub_f16_e32 v48, v54, v48
	v_add_f16_e32 v14, v51, v14
	v_sub_f16_e32 v49, v50, v49
	ds_write2_b32 v156, v1, v2 offset0:8 offset1:204
	v_pack_b32_f16 v1, v13, v53
	v_pack_b32_f16 v2, v37, v19
	v_fma_f16 v0, v0, 2.0, -v47
	v_fma_f16 v54, v54, 2.0, -v48
	;; [unrolled: 1-line block ×4, first 2 shown]
	ds_write2_b32 v159, v1, v2 offset0:16 offset1:212
	v_pack_b32_f16 v1, v17, v44
	v_pack_b32_f16 v2, v45, v46
	ds_write2_b32 v160, v1, v2 offset0:24 offset1:220
	v_pack_b32_f16 v0, v0, v54
	v_pack_b32_f16 v1, v51, v50
	;; [unrolled: 3-line block ×3, first 2 shown]
	ds_write2_b32 v164, v0, v1 offset0:40 offset1:236
	s_waitcnt lgkmcnt(0)
	s_barrier
	ds_read2_b32 v[0:1], v133 offset0:16 offset1:212
	ds_read2_b32 v[2:3], v126 offset1:196
	ds_read2_b32 v[12:13], v131 offset0:32 offset1:228
	ds_read2_b32 v[14:15], v130 offset0:48 offset1:244
	ds_read2_b32 v[16:17], v129 offset1:196
	ds_read2_b32 v[18:19], v128 offset0:16 offset1:212
	ds_read2_b32 v[20:21], v127 offset0:32 offset1:228
	s_waitcnt lgkmcnt(4)
	v_lshrrev_b32_e32 v45, 16, v12
	v_lshrrev_b32_e32 v51, 16, v13
	;; [unrolled: 1-line block ×3, first 2 shown]
	v_mul_f16_sdwa v61, v8, v44 dst_sel:DWORD dst_unused:UNUSED_PAD src0_sel:WORD_1 src1_sel:DWORD
	v_fma_f16 v61, v8, v0, v61
	v_mul_f16_sdwa v0, v8, v0 dst_sel:DWORD dst_unused:UNUSED_PAD src0_sel:WORD_1 src1_sel:DWORD
	v_fma_f16 v0, v8, v44, -v0
	v_mul_f16_sdwa v8, v9, v45 dst_sel:DWORD dst_unused:UNUSED_PAD src0_sel:WORD_1 src1_sel:DWORD
	s_waitcnt lgkmcnt(1)
	v_lshrrev_b32_e32 v48, 16, v18
	v_fma_f16 v8, v9, v12, v8
	v_mul_f16_sdwa v12, v9, v12 dst_sel:DWORD dst_unused:UNUSED_PAD src0_sel:WORD_1 src1_sel:DWORD
	v_fma_f16 v9, v9, v45, -v12
	v_mul_f16_sdwa v45, v76, v48 dst_sel:DWORD dst_unused:UNUSED_PAD src0_sel:WORD_1 src1_sel:DWORD
	v_lshrrev_b32_e32 v50, 16, v1
	v_fma_f16 v45, v76, v18, v45
	v_mul_f16_sdwa v18, v76, v18 dst_sel:DWORD dst_unused:UNUSED_PAD src0_sel:WORD_1 src1_sel:DWORD
	v_fma_f16 v18, v76, v48, -v18
	v_mul_f16_sdwa v48, v4, v50 dst_sel:DWORD dst_unused:UNUSED_PAD src0_sel:WORD_1 src1_sel:DWORD
	v_fma_f16 v48, v4, v1, v48
	v_mul_f16_sdwa v1, v4, v1 dst_sel:DWORD dst_unused:UNUSED_PAD src0_sel:WORD_1 src1_sel:DWORD
	v_fma_f16 v1, v4, v50, -v1
	v_mul_f16_sdwa v4, v5, v51 dst_sel:DWORD dst_unused:UNUSED_PAD src0_sel:WORD_1 src1_sel:DWORD
	v_lshrrev_b32_e32 v52, 16, v15
	v_fma_f16 v4, v5, v13, v4
	v_mul_f16_sdwa v13, v5, v13 dst_sel:DWORD dst_unused:UNUSED_PAD src0_sel:WORD_1 src1_sel:DWORD
	ds_read2_b32 v[22:23], v113 offset0:8 offset1:204
	ds_read2_b32 v[32:33], v111 offset0:24 offset1:220
	;; [unrolled: 1-line block ×7, first 2 shown]
	v_fma_f16 v5, v5, v51, -v13
	v_mul_f16_sdwa v13, v6, v52 dst_sel:DWORD dst_unused:UNUSED_PAD src0_sel:WORD_1 src1_sel:DWORD
	v_lshrrev_b32_e32 v46, 16, v14
	v_lshrrev_b32_e32 v53, 16, v17
	v_fma_f16 v13, v6, v15, v13
	v_mul_f16_sdwa v15, v6, v15 dst_sel:DWORD dst_unused:UNUSED_PAD src0_sel:WORD_1 src1_sel:DWORD
	v_mul_f16_sdwa v12, v10, v46 dst_sel:DWORD dst_unused:UNUSED_PAD src0_sel:WORD_1 src1_sel:DWORD
	v_fma_f16 v6, v6, v52, -v15
	v_mul_f16_sdwa v15, v7, v53 dst_sel:DWORD dst_unused:UNUSED_PAD src0_sel:WORD_1 src1_sel:DWORD
	v_lshrrev_b32_e32 v47, 16, v16
	s_waitcnt lgkmcnt(7)
	v_lshrrev_b32_e32 v55, 16, v21
	v_fma_f16 v12, v10, v14, v12
	v_mul_f16_sdwa v14, v10, v14 dst_sel:DWORD dst_unused:UNUSED_PAD src0_sel:WORD_1 src1_sel:DWORD
	v_fma_f16 v15, v7, v17, v15
	v_mul_f16_sdwa v17, v7, v17 dst_sel:DWORD dst_unused:UNUSED_PAD src0_sel:WORD_1 src1_sel:DWORD
	v_fma_f16 v10, v10, v46, -v14
	v_mul_f16_sdwa v14, v11, v16 dst_sel:DWORD dst_unused:UNUSED_PAD src0_sel:WORD_1 src1_sel:DWORD
	v_mul_f16_sdwa v44, v11, v47 dst_sel:DWORD dst_unused:UNUSED_PAD src0_sel:WORD_1 src1_sel:DWORD
	v_fma_f16 v7, v7, v53, -v17
	v_mul_f16_sdwa v53, v75, v55 dst_sel:DWORD dst_unused:UNUSED_PAD src0_sel:WORD_1 src1_sel:DWORD
	v_fma_f16 v14, v11, v47, -v14
	v_fma_f16 v11, v11, v16, v44
	s_waitcnt lgkmcnt(0)
	v_lshrrev_b32_e32 v16, 16, v42
	v_fma_f16 v53, v75, v21, v53
	v_mul_f16_sdwa v21, v75, v21 dst_sel:DWORD dst_unused:UNUSED_PAD src0_sel:WORD_1 src1_sel:DWORD
	v_lshrrev_b32_e32 v54, 16, v19
	v_fma_f16 v21, v75, v55, -v21
	v_mul_f16_sdwa v55, v87, v16 dst_sel:DWORD dst_unused:UNUSED_PAD src0_sel:WORD_1 src1_sel:DWORD
	v_lshrrev_b32_e32 v49, 16, v20
	v_lshrrev_b32_e32 v44, 16, v33
	v_mul_f16_sdwa v17, v74, v54 dst_sel:DWORD dst_unused:UNUSED_PAD src0_sel:WORD_1 src1_sel:DWORD
	v_fma_f16 v55, v87, v42, v55
	v_mul_f16_sdwa v42, v87, v42 dst_sel:DWORD dst_unused:UNUSED_PAD src0_sel:WORD_1 src1_sel:DWORD
	v_lshrrev_b32_e32 v56, 16, v32
	v_mul_f16_sdwa v47, v77, v49 dst_sel:DWORD dst_unused:UNUSED_PAD src0_sel:WORD_1 src1_sel:DWORD
	v_fma_f16 v17, v74, v19, v17
	v_mul_f16_sdwa v19, v74, v19 dst_sel:DWORD dst_unused:UNUSED_PAD src0_sel:WORD_1 src1_sel:DWORD
	v_fma_f16 v16, v87, v16, -v42
	v_mul_f16_sdwa v42, v28, v44 dst_sel:DWORD dst_unused:UNUSED_PAD src0_sel:WORD_1 src1_sel:DWORD
	v_mul_f16_sdwa v46, v77, v20 dst_sel:DWORD dst_unused:UNUSED_PAD src0_sel:WORD_1 src1_sel:DWORD
	v_fma_f16 v20, v77, v20, v47
	v_lshrrev_b32_e32 v47, 16, v35
	v_fma_f16 v19, v74, v54, -v19
	v_mul_f16_sdwa v54, v24, v56 dst_sel:DWORD dst_unused:UNUSED_PAD src0_sel:WORD_1 src1_sel:DWORD
	v_fma_f16 v42, v28, v33, v42
	v_mul_f16_sdwa v33, v28, v33 dst_sel:DWORD dst_unused:UNUSED_PAD src0_sel:WORD_1 src1_sel:DWORD
	v_lshrrev_b32_e32 v57, 16, v34
	v_fma_f16 v54, v24, v32, v54
	v_mul_f16_sdwa v32, v24, v32 dst_sel:DWORD dst_unused:UNUSED_PAD src0_sel:WORD_1 src1_sel:DWORD
	v_fma_f16 v28, v28, v44, -v33
	v_mul_f16_sdwa v33, v29, v47 dst_sel:DWORD dst_unused:UNUSED_PAD src0_sel:WORD_1 src1_sel:DWORD
	v_fma_f16 v46, v77, v49, -v46
	v_lshrrev_b32_e32 v49, 16, v37
	v_fma_f16 v24, v24, v56, -v32
	v_mul_f16_sdwa v32, v25, v57 dst_sel:DWORD dst_unused:UNUSED_PAD src0_sel:WORD_1 src1_sel:DWORD
	v_fma_f16 v33, v29, v35, v33
	v_mul_f16_sdwa v35, v29, v35 dst_sel:DWORD dst_unused:UNUSED_PAD src0_sel:WORD_1 src1_sel:DWORD
	v_lshrrev_b32_e32 v58, 16, v36
	v_fma_f16 v32, v25, v34, v32
	v_mul_f16_sdwa v34, v25, v34 dst_sel:DWORD dst_unused:UNUSED_PAD src0_sel:WORD_1 src1_sel:DWORD
	v_fma_f16 v29, v29, v47, -v35
	v_mul_f16_sdwa v35, v30, v49 dst_sel:DWORD dst_unused:UNUSED_PAD src0_sel:WORD_1 src1_sel:DWORD
	v_lshrrev_b32_e32 v50, 16, v39
	v_fma_f16 v25, v25, v57, -v34
	v_mul_f16_sdwa v34, v26, v58 dst_sel:DWORD dst_unused:UNUSED_PAD src0_sel:WORD_1 src1_sel:DWORD
	v_fma_f16 v35, v30, v37, v35
	v_mul_f16_sdwa v37, v30, v37 dst_sel:DWORD dst_unused:UNUSED_PAD src0_sel:WORD_1 src1_sel:DWORD
	v_lshrrev_b32_e32 v59, 16, v38
	v_fma_f16 v34, v26, v36, v34
	v_mul_f16_sdwa v36, v26, v36 dst_sel:DWORD dst_unused:UNUSED_PAD src0_sel:WORD_1 src1_sel:DWORD
	v_fma_f16 v30, v30, v49, -v37
	v_mul_f16_sdwa v37, v31, v50 dst_sel:DWORD dst_unused:UNUSED_PAD src0_sel:WORD_1 src1_sel:DWORD
	v_lshrrev_b32_e32 v51, 16, v41
	v_lshrrev_b32_e32 v52, 16, v43
	v_fma_f16 v26, v26, v58, -v36
	v_mul_f16_sdwa v36, v27, v59 dst_sel:DWORD dst_unused:UNUSED_PAD src0_sel:WORD_1 src1_sel:DWORD
	v_fma_f16 v37, v31, v39, v37
	v_mul_f16_sdwa v39, v31, v39 dst_sel:DWORD dst_unused:UNUSED_PAD src0_sel:WORD_1 src1_sel:DWORD
	v_lshrrev_b32_e32 v60, 16, v40
	v_fma_f16 v36, v27, v38, v36
	v_mul_f16_sdwa v38, v27, v38 dst_sel:DWORD dst_unused:UNUSED_PAD src0_sel:WORD_1 src1_sel:DWORD
	v_fma_f16 v31, v31, v50, -v39
	v_mul_f16_sdwa v39, v88, v51 dst_sel:DWORD dst_unused:UNUSED_PAD src0_sel:WORD_1 src1_sel:DWORD
	v_mul_f16_sdwa v44, v89, v52 dst_sel:DWORD dst_unused:UNUSED_PAD src0_sel:WORD_1 src1_sel:DWORD
	v_add_f16_e32 v47, v61, v20
	v_add_f16_e32 v49, v0, v46
	v_sub_f16_e32 v0, v0, v46
	v_add_f16_e32 v46, v8, v45
	v_add_f16_e32 v50, v9, v18
	v_fma_f16 v27, v27, v59, -v38
	v_mul_f16_sdwa v38, v86, v60 dst_sel:DWORD dst_unused:UNUSED_PAD src0_sel:WORD_1 src1_sel:DWORD
	v_fma_f16 v39, v88, v41, v39
	v_mul_f16_sdwa v41, v88, v41 dst_sel:DWORD dst_unused:UNUSED_PAD src0_sel:WORD_1 src1_sel:DWORD
	v_fma_f16 v44, v89, v43, v44
	v_mul_f16_sdwa v43, v89, v43 dst_sel:DWORD dst_unused:UNUSED_PAD src0_sel:WORD_1 src1_sel:DWORD
	v_sub_f16_e32 v20, v61, v20
	v_sub_f16_e32 v8, v8, v45
	;; [unrolled: 1-line block ×3, first 2 shown]
	v_add_f16_e32 v18, v12, v11
	v_add_f16_e32 v45, v10, v14
	v_sub_f16_e32 v11, v11, v12
	v_sub_f16_e32 v10, v14, v10
	v_add_f16_e32 v12, v46, v47
	v_add_f16_e32 v14, v50, v49
	v_fma_f16 v38, v86, v40, v38
	v_mul_f16_sdwa v40, v86, v40 dst_sel:DWORD dst_unused:UNUSED_PAD src0_sel:WORD_1 src1_sel:DWORD
	v_fma_f16 v41, v88, v51, -v41
	v_fma_f16 v43, v89, v52, -v43
	v_sub_f16_e32 v51, v46, v47
	v_sub_f16_e32 v52, v50, v49
	;; [unrolled: 1-line block ×6, first 2 shown]
	v_add_f16_e32 v56, v11, v8
	v_add_f16_e32 v57, v10, v9
	v_sub_f16_e32 v58, v11, v8
	v_sub_f16_e32 v59, v10, v9
	;; [unrolled: 1-line block ×4, first 2 shown]
	v_add_f16_e32 v12, v18, v12
	v_add_f16_e32 v14, v45, v14
	v_fma_f16 v40, v86, v60, -v40
	v_sub_f16_e32 v11, v20, v11
	v_sub_f16_e32 v10, v0, v10
	v_add_f16_e32 v18, v56, v20
	v_add_f16_e32 v0, v57, v0
	;; [unrolled: 1-line block ×3, first 2 shown]
	v_add_f16_sdwa v2, v2, v14 dst_sel:DWORD dst_unused:UNUSED_PAD src0_sel:WORD_1 src1_sel:DWORD
	v_mul_f16_e32 v45, 0x3a52, v47
	v_mul_f16_e32 v47, 0x3a52, v49
	;; [unrolled: 1-line block ×8, first 2 shown]
	v_fma_f16 v12, v12, s6, v20
	v_fma_f16 v14, v14, s6, v2
	;; [unrolled: 1-line block ×4, first 2 shown]
	v_fma_f16 v49, v51, s7, -v49
	v_fma_f16 v56, v52, s7, -v56
	;; [unrolled: 1-line block ×4, first 2 shown]
	v_fma_f16 v51, v11, s13, v57
	v_fma_f16 v52, v10, s13, v58
	v_fma_f16 v9, v9, s3, -v58
	v_fma_f16 v11, v11, s1, v59
	v_fma_f16 v10, v10, s1, v60
	v_fma_f16 v8, v8, s3, -v57
	v_add_f16_e32 v46, v46, v12
	v_add_f16_e32 v50, v50, v14
	;; [unrolled: 1-line block ×6, first 2 shown]
	v_fma_f16 v45, v18, s2, v51
	v_fma_f16 v47, v0, s2, v52
	;; [unrolled: 1-line block ×6, first 2 shown]
	v_add_f16_e32 v10, v47, v46
	v_sub_f16_e32 v18, v50, v45
	v_add_f16_e32 v51, v0, v12
	v_sub_f16_e32 v52, v14, v11
	v_sub_f16_e32 v0, v12, v0
	v_add_f16_e32 v11, v11, v14
	v_sub_f16_e32 v12, v46, v47
	v_add_f16_e32 v14, v45, v50
	v_add_f16_e32 v45, v48, v53
	;; [unrolled: 1-line block ×3, first 2 shown]
	v_sub_f16_e32 v47, v48, v53
	v_sub_f16_e32 v1, v1, v21
	v_add_f16_e32 v21, v4, v17
	v_add_f16_e32 v48, v5, v19
	v_sub_f16_e32 v4, v4, v17
	v_sub_f16_e32 v5, v5, v19
	v_add_f16_e32 v17, v13, v15
	v_add_f16_e32 v19, v6, v7
	;; [unrolled: 4-line block ×3, first 2 shown]
	v_sub_f16_e32 v57, v49, v9
	v_add_f16_e32 v58, v8, v56
	v_add_f16_e32 v9, v9, v49
	v_sub_f16_e32 v8, v56, v8
	v_sub_f16_e32 v49, v21, v45
	;; [unrolled: 1-line block ×7, first 2 shown]
	v_add_f16_e32 v53, v13, v4
	v_add_f16_e32 v56, v6, v5
	v_sub_f16_e32 v59, v13, v4
	v_sub_f16_e32 v60, v6, v5
	;; [unrolled: 1-line block ×4, first 2 shown]
	v_add_f16_e32 v7, v17, v7
	v_add_f16_e32 v15, v19, v15
	v_sub_f16_e32 v13, v47, v13
	v_sub_f16_e32 v6, v1, v6
	v_add_f16_e32 v17, v53, v47
	v_add_f16_e32 v1, v56, v1
	v_add_f16_e32 v19, v3, v7
	v_add_f16_sdwa v3, v3, v15 dst_sel:DWORD dst_unused:UNUSED_PAD src0_sel:WORD_1 src1_sel:DWORD
	v_mul_f16_e32 v45, 0x3a52, v45
	v_mul_f16_e32 v46, 0x3a52, v46
	v_mul_f16_e32 v47, 0x2b26, v21
	v_mul_f16_e32 v53, 0x2b26, v48
	v_mul_f16_e32 v56, 0x3846, v59
	v_mul_f16_e32 v59, 0x3846, v60
	v_mul_f16_e32 v60, 0x3b00, v4
	v_mul_f16_e32 v61, 0x3b00, v5
	v_fma_f16 v7, v7, s6, v19
	v_fma_f16 v15, v15, s6, v3
	;; [unrolled: 1-line block ×4, first 2 shown]
	v_fma_f16 v47, v49, s7, -v47
	v_fma_f16 v53, v50, s7, -v53
	;; [unrolled: 1-line block ×4, first 2 shown]
	v_fma_f16 v49, v13, s13, v56
	v_fma_f16 v50, v6, s13, v59
	v_fma_f16 v5, v5, s3, -v59
	v_fma_f16 v13, v13, s1, v60
	v_fma_f16 v6, v6, s1, v61
	v_fma_f16 v4, v4, s3, -v56
	v_add_f16_e32 v21, v21, v7
	v_add_f16_e32 v48, v48, v15
	;; [unrolled: 1-line block ×6, first 2 shown]
	v_fma_f16 v45, v17, s2, v49
	v_fma_f16 v46, v1, s2, v50
	;; [unrolled: 1-line block ×6, first 2 shown]
	v_add_f16_e32 v6, v46, v21
	v_sub_f16_e32 v17, v48, v45
	v_add_f16_e32 v49, v1, v7
	v_sub_f16_e32 v50, v15, v13
	v_sub_f16_e32 v56, v47, v5
	v_add_f16_e32 v5, v5, v47
	v_sub_f16_e32 v1, v7, v1
	v_add_f16_e32 v7, v13, v15
	;; [unrolled: 2-line block ×3, first 2 shown]
	v_add_f16_e32 v21, v54, v55
	v_add_f16_e32 v45, v24, v16
	v_sub_f16_e32 v16, v24, v16
	v_add_f16_e32 v24, v32, v38
	v_add_f16_e32 v47, v25, v40
	v_sub_f16_e32 v32, v32, v38
	v_sub_f16_e32 v25, v25, v40
	v_add_f16_e32 v38, v34, v36
	v_add_f16_e32 v40, v26, v27
	v_sub_f16_e32 v34, v36, v34
	v_sub_f16_e32 v26, v27, v26
	v_add_f16_e32 v27, v24, v21
	v_add_f16_e32 v36, v47, v45
	;; [unrolled: 1-line block ×3, first 2 shown]
	v_sub_f16_e32 v4, v53, v4
	v_sub_f16_e32 v46, v54, v55
	;; [unrolled: 1-line block ×8, first 2 shown]
	v_add_f16_e32 v54, v34, v32
	v_add_f16_e32 v55, v26, v25
	v_sub_f16_e32 v60, v34, v32
	v_sub_f16_e32 v61, v26, v25
	v_add_f16_e32 v27, v38, v27
	v_add_f16_e32 v36, v40, v36
	v_sub_f16_e32 v34, v46, v34
	v_sub_f16_e32 v26, v16, v26
	;; [unrolled: 1-line block ×4, first 2 shown]
	v_add_f16_e32 v38, v54, v46
	v_add_f16_e32 v16, v55, v16
	;; [unrolled: 1-line block ×3, first 2 shown]
	v_add_f16_sdwa v22, v22, v36 dst_sel:DWORD dst_unused:UNUSED_PAD src0_sel:WORD_1 src1_sel:DWORD
	v_mul_f16_e32 v21, 0x3a52, v21
	v_mul_f16_e32 v45, 0x3a52, v45
	;; [unrolled: 1-line block ×8, first 2 shown]
	v_fma_f16 v27, v27, s6, v40
	v_fma_f16 v36, v36, s6, v22
	;; [unrolled: 1-line block ×4, first 2 shown]
	v_fma_f16 v46, v48, s7, -v46
	v_fma_f16 v54, v53, s7, -v54
	;; [unrolled: 1-line block ×4, first 2 shown]
	v_fma_f16 v48, v34, s13, v55
	v_fma_f16 v53, v26, s13, v60
	v_pack_b32_f16 v10, v10, v18
	v_pack_b32_f16 v0, v0, v11
	v_fma_f16 v32, v32, s3, -v55
	v_fma_f16 v25, v25, s3, -v60
	v_fma_f16 v34, v34, s1, v61
	v_fma_f16 v26, v26, s1, v62
	v_add_f16_e32 v24, v24, v27
	v_add_f16_e32 v47, v47, v36
	;; [unrolled: 1-line block ×6, first 2 shown]
	v_fma_f16 v36, v38, s2, v48
	v_fma_f16 v45, v16, s2, v53
	ds_write_b32 v126, v10 offset:3136
	v_pack_b32_f16 v10, v51, v52
	ds_write_b32 v126, v0 offset:15680
	v_pack_b32_f16 v0, v12, v14
	v_fma_f16 v32, v38, s2, v32
	v_fma_f16 v25, v16, s2, v25
	;; [unrolled: 1-line block ×4, first 2 shown]
	v_add_f16_e32 v26, v45, v24
	v_sub_f16_e32 v38, v47, v36
	v_pack_b32_f16 v2, v20, v2
	ds_write_b32 v126, v10 offset:6272
	v_pack_b32_f16 v10, v57, v58
	v_pack_b32_f16 v8, v9, v8
	ds_write_b32 v126, v0 offset:18816
	v_pack_b32_f16 v0, v19, v3
	v_add_f16_e32 v48, v16, v21
	v_sub_f16_e32 v53, v27, v34
	v_sub_f16_e32 v16, v21, v16
	v_add_f16_e32 v21, v34, v27
	v_add_f16_e32 v27, v36, v47
	;; [unrolled: 1-line block ×4, first 2 shown]
	v_sub_f16_e32 v42, v42, v44
	v_sub_f16_e32 v28, v28, v43
	v_add_f16_e32 v43, v33, v39
	v_add_f16_e32 v44, v29, v41
	ds_write_b32 v126, v10 offset:9408
	ds_write_b32 v126, v8 offset:12544
	ds_write2_b32 v126, v2, v0 offset1:196
	v_pack_b32_f16 v0, v6, v17
	v_pack_b32_f16 v1, v1, v7
	;; [unrolled: 1-line block ×3, first 2 shown]
	v_sub_f16_e32 v55, v46, v25
	v_add_f16_e32 v60, v32, v54
	v_sub_f16_e32 v33, v33, v39
	v_sub_f16_e32 v29, v29, v41
	v_add_f16_e32 v39, v35, v37
	v_add_f16_e32 v41, v30, v31
	v_sub_f16_e32 v35, v37, v35
	v_sub_f16_e32 v30, v31, v30
	v_add_f16_e32 v31, v43, v34
	v_add_f16_e32 v37, v44, v36
	v_pack_b32_f16 v2, v49, v50
	ds_write2_b32 v132, v0, v7 offset0:20 offset1:216
	v_pack_b32_f16 v0, v48, v53
	v_add_f16_e32 v25, v25, v46
	v_sub_f16_e32 v32, v54, v32
	v_sub_f16_e32 v24, v24, v45
	;; [unrolled: 1-line block ×8, first 2 shown]
	v_add_f16_e32 v47, v35, v33
	v_add_f16_e32 v54, v30, v29
	v_sub_f16_e32 v61, v35, v33
	v_sub_f16_e32 v62, v30, v29
	v_add_f16_e32 v31, v39, v31
	v_add_f16_e32 v37, v41, v37
	v_pack_b32_f16 v3, v56, v59
	ds_write2_b32 v134, v2, v0 offset0:36 offset1:232
	v_pack_b32_f16 v0, v55, v60
	v_sub_f16_e32 v35, v42, v35
	v_sub_f16_e32 v30, v28, v30
	;; [unrolled: 1-line block ×4, first 2 shown]
	v_add_f16_e32 v39, v47, v42
	v_add_f16_e32 v28, v54, v28
	;; [unrolled: 1-line block ×3, first 2 shown]
	v_add_f16_sdwa v23, v23, v37 dst_sel:DWORD dst_unused:UNUSED_PAD src0_sel:WORD_1 src1_sel:DWORD
	v_mul_f16_e32 v34, 0x3a52, v34
	v_mul_f16_e32 v36, 0x3a52, v36
	;; [unrolled: 1-line block ×6, first 2 shown]
	v_pack_b32_f16 v4, v5, v4
	ds_write2_b32 v135, v3, v0 offset0:52 offset1:248
	v_pack_b32_f16 v0, v25, v32
	v_mul_f16_e32 v62, 0x3b00, v33
	v_mul_f16_e32 v63, 0x3b00, v29
	v_fma_f16 v31, v31, s6, v41
	v_fma_f16 v37, v37, s6, v23
	;; [unrolled: 1-line block ×4, first 2 shown]
	v_fma_f16 v42, v45, s7, -v42
	v_fma_f16 v47, v46, s7, -v47
	v_fma_f16 v34, v45, s12, -v34
	v_fma_f16 v36, v46, s12, -v36
	v_fma_f16 v45, v35, s13, v54
	v_fma_f16 v46, v30, s13, v61
	ds_write2_b32 v136, v4, v0 offset0:4 offset1:200
	v_pack_b32_f16 v0, v16, v21
	v_fma_f16 v33, v33, s3, -v54
	v_fma_f16 v29, v29, s3, -v61
	v_fma_f16 v35, v35, s1, v62
	v_fma_f16 v30, v30, s1, v63
	v_add_f16_e32 v43, v43, v31
	v_add_f16_e32 v44, v44, v37
	;; [unrolled: 1-line block ×6, first 2 shown]
	v_fma_f16 v36, v39, s2, v45
	v_fma_f16 v37, v28, s2, v46
	v_pack_b32_f16 v5, v13, v15
	ds_write2_b32 v137, v1, v0 offset0:20 offset1:216
	v_pack_b32_f16 v0, v24, v27
	v_fma_f16 v33, v39, s2, v33
	v_fma_f16 v29, v28, s2, v29
	;; [unrolled: 1-line block ×4, first 2 shown]
	v_add_f16_e32 v30, v37, v43
	v_sub_f16_e32 v39, v44, v36
	v_pack_b32_f16 v6, v40, v22
	ds_write2_b32 v138, v5, v0 offset0:36 offset1:232
	v_pack_b32_f16 v0, v41, v23
	v_add_f16_e32 v45, v28, v31
	v_sub_f16_e32 v46, v34, v35
	ds_write2_b32 v113, v6, v0 offset0:8 offset1:204
	v_pack_b32_f16 v0, v30, v39
	v_sub_f16_e32 v54, v42, v29
	v_add_f16_e32 v61, v33, v47
	ds_write_b32 v126, v0 offset:5488
	v_pack_b32_f16 v0, v45, v46
	v_add_f16_e32 v29, v29, v42
	v_sub_f16_e32 v33, v47, v33
	ds_write_b32 v126, v0 offset:8624
	v_pack_b32_f16 v0, v54, v61
	v_sub_f16_e32 v28, v31, v28
	v_add_f16_e32 v31, v35, v34
	ds_write_b32 v126, v0 offset:11760
	v_pack_b32_f16 v0, v29, v33
	v_sub_f16_e32 v34, v43, v37
	v_add_f16_e32 v35, v36, v44
	ds_write_b32 v126, v0 offset:14896
	v_pack_b32_f16 v0, v28, v31
	ds_write_b32 v126, v0 offset:18032
	v_pack_b32_f16 v0, v34, v35
	ds_write_b32 v126, v0 offset:21168
	s_waitcnt lgkmcnt(0)
	s_barrier
	ds_read2_b32 v[0:1], v126 offset1:196
	s_mov_b32 s2, 0x515a4f1d
	s_mov_b32 s3, 0x3f27e225
	v_mad_u64_u32 v[4:5], s[0:1], s10, v71, 0
	s_waitcnt lgkmcnt(0)
	v_lshrrev_b32_e32 v7, 16, v0
	v_mul_f16_sdwa v2, v125, v7 dst_sel:DWORD dst_unused:UNUSED_PAD src0_sel:WORD_1 src1_sel:DWORD
	v_fma_f16 v2, v125, v0, v2
	v_cvt_f32_f16_e32 v2, v2
	s_movk_i32 s6, 0x1ff
	v_mad_u64_u32 v[5:6], s[0:1], s11, v71, v[5:6]
	v_cvt_f64_f32_e32 v[2:3], v2
	s_movk_i32 s7, 0xffe
	v_mul_f16_sdwa v0, v125, v0 dst_sel:DWORD dst_unused:UNUSED_PAD src0_sel:WORD_1 src1_sel:DWORD
	v_fma_f16 v0, v125, v7, -v0
	v_mul_f64 v[2:3], v[2:3], s[2:3]
	v_cvt_f32_f16_e32 v0, v0
	v_mov_b32_e32 v14, 0x7c00
	s_movk_i32 s10, 0x40f
	v_lshlrev_b64 v[4:5], 2, v[4:5]
	v_and_or_b32 v2, v3, s6, v2
	v_cmp_ne_u32_e32 vcc, 0, v2
	v_cndmask_b32_e64 v2, 0, 1, vcc
	v_lshrrev_b32_e32 v6, 8, v3
	v_bfe_u32 v8, v3, 20, 11
	v_and_or_b32 v2, v6, s7, v2
	v_sub_u32_e32 v9, 0x3f1, v8
	v_or_b32_e32 v6, 0x1000, v2
	v_med3_i32 v9, v9, 0, 13
	v_lshrrev_b32_e32 v10, v9, v6
	v_lshlrev_b32_e32 v9, v9, v10
	v_cmp_ne_u32_e32 vcc, v9, v6
	v_cndmask_b32_e64 v6, 0, 1, vcc
	v_add_u32_e32 v8, 0xfffffc10, v8
	v_or_b32_e32 v6, v10, v6
	v_lshl_or_b32 v9, v8, 12, v2
	v_cmp_gt_i32_e32 vcc, 1, v8
	v_cndmask_b32_e32 v6, v9, v6, vcc
	v_and_b32_e32 v9, 7, v6
	v_cmp_lt_i32_e32 vcc, 5, v9
	v_cmp_eq_u32_e64 s[0:1], 3, v9
	v_lshrrev_b32_e32 v6, 2, v6
	s_or_b64 vcc, s[0:1], vcc
	v_addc_co_u32_e32 v9, vcc, 0, v6, vcc
	v_cvt_f64_f32_e32 v[6:7], v0
	v_cmp_gt_i32_e32 vcc, 31, v8
	v_cndmask_b32_e32 v0, v14, v9, vcc
	v_cmp_ne_u32_e32 vcc, 0, v2
	v_mul_f64 v[6:7], v[6:7], s[2:3]
	v_cndmask_b32_e64 v2, 0, 1, vcc
	v_lshl_or_b32 v2, v2, 9, v14
	v_cmp_eq_u32_e32 vcc, s10, v8
	v_cndmask_b32_e32 v0, v0, v2, vcc
	v_lshrrev_b32_e32 v2, 16, v3
	v_and_or_b32 v10, v2, s14, v0
	v_and_b32_e32 v10, 0xffff, v10
	v_and_or_b32 v0, v7, s6, v6
	v_cmp_ne_u32_e32 vcc, 0, v0
	v_cndmask_b32_e64 v0, 0, 1, vcc
	v_lshrrev_b32_e32 v2, 8, v7
	v_bfe_u32 v3, v7, 20, 11
	v_and_or_b32 v0, v2, s7, v0
	v_sub_u32_e32 v6, 0x3f1, v3
	v_or_b32_e32 v2, 0x1000, v0
	v_med3_i32 v6, v6, 0, 13
	v_lshrrev_b32_e32 v8, v6, v2
	v_lshlrev_b32_e32 v6, v6, v8
	v_cmp_ne_u32_e32 vcc, v6, v2
	v_cndmask_b32_e64 v2, 0, 1, vcc
	v_add_u32_e32 v3, 0xfffffc10, v3
	v_or_b32_e32 v2, v8, v2
	v_lshl_or_b32 v6, v3, 12, v0
	v_cmp_gt_i32_e32 vcc, 1, v3
	v_cndmask_b32_e32 v2, v6, v2, vcc
	v_and_b32_e32 v6, 7, v2
	v_cmp_lt_i32_e32 vcc, 5, v6
	v_cmp_eq_u32_e64 s[0:1], 3, v6
	v_lshrrev_b32_e32 v2, 2, v2
	s_or_b64 vcc, s[0:1], vcc
	v_addc_co_u32_e32 v2, vcc, 0, v2, vcc
	v_cmp_gt_i32_e32 vcc, 31, v3
	v_cndmask_b32_e32 v2, v14, v2, vcc
	v_cmp_ne_u32_e32 vcc, 0, v0
	v_cndmask_b32_e64 v0, 0, 1, vcc
	v_lshl_or_b32 v0, v0, 9, v14
	v_cmp_eq_u32_e32 vcc, s10, v3
	v_mad_u64_u32 v[8:9], s[0:1], s8, v124, 0
	v_cndmask_b32_e32 v11, v2, v0, vcc
	ds_read2_b32 v[2:3], v133 offset0:16 offset1:212
	v_mov_b32_e32 v0, v9
	v_lshrrev_b32_e32 v12, 16, v7
	v_mad_u64_u32 v[6:7], s[0:1], s9, v124, v[0:1]
	s_waitcnt lgkmcnt(0)
	v_lshrrev_b32_e32 v0, 16, v2
	v_mul_f16_sdwa v7, v123, v0 dst_sel:DWORD dst_unused:UNUSED_PAD src0_sel:WORD_1 src1_sel:DWORD
	v_fma_f16 v7, v123, v2, v7
	v_cvt_f32_f16_e32 v7, v7
	v_mov_b32_e32 v9, v6
	v_and_or_b32 v11, v12, s14, v11
	v_lshl_or_b32 v10, v11, 16, v10
	v_cvt_f64_f32_e32 v[6:7], v7
	v_mov_b32_e32 v11, s5
	v_add_co_u32_e32 v12, vcc, s4, v4
	v_mul_f64 v[6:7], v[6:7], s[2:3]
	v_addc_co_u32_e32 v11, vcc, v11, v5, vcc
	v_lshlrev_b64 v[4:5], 2, v[8:9]
	v_mul_f16_sdwa v2, v123, v2 dst_sel:DWORD dst_unused:UNUSED_PAD src0_sel:WORD_1 src1_sel:DWORD
	v_add_co_u32_e32 v8, vcc, v12, v4
	v_addc_co_u32_e32 v9, vcc, v11, v5, vcc
	v_and_or_b32 v4, v7, s6, v6
	v_cmp_ne_u32_e32 vcc, 0, v4
	v_cndmask_b32_e64 v4, 0, 1, vcc
	v_lshrrev_b32_e32 v5, 8, v7
	global_store_dword v[8:9], v10, off
	v_and_or_b32 v10, v5, s7, v4
	v_bfe_u32 v5, v7, 20, 11
	v_sub_u32_e32 v6, 0x3f1, v5
	v_or_b32_e32 v4, 0x1000, v10
	v_med3_i32 v6, v6, 0, 13
	v_lshrrev_b32_e32 v11, v6, v4
	v_lshlrev_b32_e32 v6, v6, v11
	v_cmp_ne_u32_e32 vcc, v6, v4
	v_cndmask_b32_e64 v4, 0, 1, vcc
	v_fma_f16 v0, v123, v0, -v2
	v_or_b32_e32 v4, v11, v4
	v_add_u32_e32 v11, 0xfffffc10, v5
	v_cvt_f32_f16_e32 v0, v0
	v_lshl_or_b32 v5, v11, 12, v10
	v_cmp_gt_i32_e32 vcc, 1, v11
	v_cndmask_b32_e32 v4, v5, v4, vcc
	v_and_b32_e32 v5, 7, v4
	v_cmp_lt_i32_e32 vcc, 5, v5
	v_cmp_eq_u32_e64 s[0:1], 3, v5
	v_lshrrev_b32_e32 v2, 2, v4
	v_cvt_f64_f32_e32 v[4:5], v0
	s_or_b64 vcc, s[0:1], vcc
	v_addc_co_u32_e32 v0, vcc, 0, v2, vcc
	v_mul_f64 v[5:6], v[4:5], s[2:3]
	v_cmp_gt_i32_e32 vcc, 31, v11
	v_cndmask_b32_e32 v0, v14, v0, vcc
	v_cmp_ne_u32_e32 vcc, 0, v10
	v_cndmask_b32_e64 v2, 0, 1, vcc
	v_lshl_or_b32 v2, v2, 9, v14
	v_cmp_eq_u32_e32 vcc, s10, v11
	v_cndmask_b32_e32 v0, v0, v2, vcc
	v_lshrrev_b32_e32 v2, 16, v7
	v_and_or_b32 v0, v2, s14, v0
	v_and_or_b32 v2, v6, s6, v5
	v_cmp_ne_u32_e32 vcc, 0, v2
	v_cndmask_b32_e64 v2, 0, 1, vcc
	v_lshrrev_b32_e32 v4, 8, v6
	v_bfe_u32 v5, v6, 20, 11
	v_and_or_b32 v2, v4, s7, v2
	v_sub_u32_e32 v7, 0x3f1, v5
	v_or_b32_e32 v4, 0x1000, v2
	v_med3_i32 v7, v7, 0, 13
	v_lshrrev_b32_e32 v10, v7, v4
	v_lshlrev_b32_e32 v7, v7, v10
	v_cmp_ne_u32_e32 vcc, v7, v4
	v_cndmask_b32_e64 v4, 0, 1, vcc
	v_add_u32_e32 v7, 0xfffffc10, v5
	v_or_b32_e32 v4, v10, v4
	v_lshl_or_b32 v5, v7, 12, v2
	v_cmp_gt_i32_e32 vcc, 1, v7
	v_cndmask_b32_e32 v4, v5, v4, vcc
	v_and_b32_e32 v5, 7, v4
	v_cmp_lt_i32_e32 vcc, 5, v5
	v_cmp_eq_u32_e64 s[0:1], 3, v5
	v_lshrrev_b32_e32 v4, 2, v4
	s_or_b64 vcc, s[0:1], vcc
	v_addc_co_u32_e32 v4, vcc, 0, v4, vcc
	v_cmp_gt_i32_e32 vcc, 31, v7
	v_cndmask_b32_e32 v10, v14, v4, vcc
	ds_read2_b32 v[4:5], v131 offset0:32 offset1:228
	v_cmp_ne_u32_e32 vcc, 0, v2
	v_cndmask_b32_e64 v2, 0, 1, vcc
	v_lshl_or_b32 v2, v2, 9, v14
	v_cmp_eq_u32_e32 vcc, s10, v7
	v_cndmask_b32_e32 v2, v10, v2, vcc
	s_waitcnt lgkmcnt(0)
	v_lshrrev_b32_e32 v10, 16, v4
	v_mul_f16_sdwa v7, v121, v10 dst_sel:DWORD dst_unused:UNUSED_PAD src0_sel:WORD_1 src1_sel:DWORD
	v_fma_f16 v7, v121, v4, v7
	v_cvt_f32_f16_e32 v7, v7
	v_lshrrev_b32_e32 v6, 16, v6
	v_and_or_b32 v2, v6, s14, v2
	s_mul_i32 s0, s9, 0xc40
	v_cvt_f64_f32_e32 v[6:7], v7
	s_mul_hi_u32 s4, s8, 0xc40
	v_and_b32_e32 v0, 0xffff, v0
	s_add_i32 s4, s4, s0
	v_mul_f64 v[6:7], v[6:7], s[2:3]
	s_mul_i32 s5, s8, 0xc40
	v_lshl_or_b32 v0, v2, 16, v0
	v_mov_b32_e32 v2, s4
	v_add_co_u32_e32 v8, vcc, s5, v8
	v_addc_co_u32_e32 v9, vcc, v9, v2, vcc
	global_store_dword v[8:9], v0, off
	v_and_or_b32 v0, v7, s6, v6
	v_cmp_ne_u32_e32 vcc, 0, v0
	v_cndmask_b32_e64 v0, 0, 1, vcc
	v_lshrrev_b32_e32 v2, 8, v7
	v_bfe_u32 v6, v7, 20, 11
	v_and_or_b32 v0, v2, s7, v0
	v_sub_u32_e32 v11, 0x3f1, v6
	v_or_b32_e32 v2, 0x1000, v0
	v_med3_i32 v11, v11, 0, 13
	v_lshrrev_b32_e32 v12, v11, v2
	v_lshlrev_b32_e32 v11, v11, v12
	v_mul_f16_sdwa v4, v121, v4 dst_sel:DWORD dst_unused:UNUSED_PAD src0_sel:WORD_1 src1_sel:DWORD
	v_cmp_ne_u32_e32 vcc, v11, v2
	v_fma_f16 v4, v121, v10, -v4
	v_cndmask_b32_e64 v2, 0, 1, vcc
	v_add_u32_e32 v6, 0xfffffc10, v6
	v_cvt_f32_f16_e32 v4, v4
	v_or_b32_e32 v2, v12, v2
	v_lshl_or_b32 v11, v6, 12, v0
	v_cmp_gt_i32_e32 vcc, 1, v6
	v_cndmask_b32_e32 v2, v11, v2, vcc
	v_and_b32_e32 v11, 7, v2
	v_cmp_lt_i32_e32 vcc, 5, v11
	v_cmp_eq_u32_e64 s[0:1], 3, v11
	v_cvt_f64_f32_e32 v[10:11], v4
	v_lshrrev_b32_e32 v2, 2, v2
	s_or_b64 vcc, s[0:1], vcc
	v_addc_co_u32_e32 v2, vcc, 0, v2, vcc
	v_mul_f64 v[10:11], v[10:11], s[2:3]
	v_cmp_gt_i32_e32 vcc, 31, v6
	v_cndmask_b32_e32 v2, v14, v2, vcc
	v_cmp_ne_u32_e32 vcc, 0, v0
	v_cndmask_b32_e64 v0, 0, 1, vcc
	v_lshl_or_b32 v0, v0, 9, v14
	v_cmp_eq_u32_e32 vcc, s10, v6
	v_cndmask_b32_e32 v0, v2, v0, vcc
	v_lshrrev_b32_e32 v2, 16, v7
	v_and_or_b32 v0, v2, s14, v0
	v_and_or_b32 v2, v11, s6, v10
	v_cmp_ne_u32_e32 vcc, 0, v2
	v_cndmask_b32_e64 v2, 0, 1, vcc
	v_lshrrev_b32_e32 v4, 8, v11
	v_bfe_u32 v6, v11, 20, 11
	v_and_or_b32 v2, v4, s7, v2
	v_sub_u32_e32 v7, 0x3f1, v6
	v_or_b32_e32 v4, 0x1000, v2
	v_med3_i32 v7, v7, 0, 13
	v_lshrrev_b32_e32 v10, v7, v4
	v_lshlrev_b32_e32 v7, v7, v10
	v_cmp_ne_u32_e32 vcc, v7, v4
	v_cndmask_b32_e64 v4, 0, 1, vcc
	v_or_b32_e32 v4, v10, v4
	v_add_u32_e32 v10, 0xfffffc10, v6
	v_lshl_or_b32 v6, v10, 12, v2
	v_cmp_gt_i32_e32 vcc, 1, v10
	v_cndmask_b32_e32 v4, v6, v4, vcc
	v_and_b32_e32 v6, 7, v4
	v_cmp_lt_i32_e32 vcc, 5, v6
	v_cmp_eq_u32_e64 s[0:1], 3, v6
	ds_read2_b32 v[6:7], v130 offset0:48 offset1:244
	v_lshrrev_b32_e32 v4, 2, v4
	s_or_b64 vcc, s[0:1], vcc
	v_addc_co_u32_e32 v4, vcc, 0, v4, vcc
	s_waitcnt lgkmcnt(0)
	v_lshrrev_b32_e32 v15, 16, v6
	v_mul_f16_sdwa v12, v119, v15 dst_sel:DWORD dst_unused:UNUSED_PAD src0_sel:WORD_1 src1_sel:DWORD
	v_fma_f16 v12, v119, v6, v12
	v_cvt_f32_f16_e32 v12, v12
	v_cmp_gt_i32_e32 vcc, 31, v10
	v_cndmask_b32_e32 v4, v14, v4, vcc
	v_cmp_ne_u32_e32 vcc, 0, v2
	v_cvt_f64_f32_e32 v[12:13], v12
	v_cndmask_b32_e64 v2, 0, 1, vcc
	v_lshl_or_b32 v2, v2, 9, v14
	v_cmp_eq_u32_e32 vcc, s10, v10
	v_cndmask_b32_e32 v2, v4, v2, vcc
	v_lshrrev_b32_e32 v4, 16, v11
	v_mul_f64 v[10:11], v[12:13], s[2:3]
	v_and_or_b32 v2, v4, s14, v2
	v_and_b32_e32 v0, 0xffff, v0
	v_lshl_or_b32 v0, v2, 16, v0
	v_mov_b32_e32 v2, s4
	v_add_co_u32_e32 v12, vcc, s5, v8
	v_addc_co_u32_e32 v13, vcc, v9, v2, vcc
	global_store_dword v[12:13], v0, off
	v_and_or_b32 v0, v11, s6, v10
	v_cmp_ne_u32_e32 vcc, 0, v0
	v_cndmask_b32_e64 v0, 0, 1, vcc
	v_lshrrev_b32_e32 v2, 8, v11
	v_bfe_u32 v4, v11, 20, 11
	v_and_or_b32 v0, v2, s7, v0
	v_sub_u32_e32 v8, 0x3f1, v4
	v_or_b32_e32 v2, 0x1000, v0
	v_med3_i32 v8, v8, 0, 13
	v_lshrrev_b32_e32 v9, v8, v2
	v_lshlrev_b32_e32 v8, v8, v9
	v_mul_f16_sdwa v6, v119, v6 dst_sel:DWORD dst_unused:UNUSED_PAD src0_sel:WORD_1 src1_sel:DWORD
	v_cmp_ne_u32_e32 vcc, v8, v2
	v_fma_f16 v6, v119, v15, -v6
	v_cndmask_b32_e64 v2, 0, 1, vcc
	v_add_u32_e32 v4, 0xfffffc10, v4
	v_cvt_f32_f16_e32 v6, v6
	v_or_b32_e32 v2, v9, v2
	v_lshl_or_b32 v8, v4, 12, v0
	v_cmp_gt_i32_e32 vcc, 1, v4
	v_cndmask_b32_e32 v2, v8, v2, vcc
	v_and_b32_e32 v8, 7, v2
	v_cmp_lt_i32_e32 vcc, 5, v8
	v_cmp_eq_u32_e64 s[0:1], 3, v8
	v_cvt_f64_f32_e32 v[8:9], v6
	v_lshrrev_b32_e32 v2, 2, v2
	s_or_b64 vcc, s[0:1], vcc
	v_addc_co_u32_e32 v2, vcc, 0, v2, vcc
	v_mul_f64 v[9:10], v[8:9], s[2:3]
	v_cmp_gt_i32_e32 vcc, 31, v4
	v_cndmask_b32_e32 v2, v14, v2, vcc
	v_cmp_ne_u32_e32 vcc, 0, v0
	v_cndmask_b32_e64 v0, 0, 1, vcc
	v_lshl_or_b32 v0, v0, 9, v14
	v_cmp_eq_u32_e32 vcc, s10, v4
	v_cndmask_b32_e32 v0, v2, v0, vcc
	v_lshrrev_b32_e32 v2, 16, v11
	v_and_or_b32 v0, v2, s14, v0
	v_and_or_b32 v2, v10, s6, v9
	v_cmp_ne_u32_e32 vcc, 0, v2
	v_cndmask_b32_e64 v2, 0, 1, vcc
	v_lshrrev_b32_e32 v4, 8, v10
	v_bfe_u32 v6, v10, 20, 11
	v_and_or_b32 v2, v4, s7, v2
	v_sub_u32_e32 v8, 0x3f1, v6
	v_or_b32_e32 v4, 0x1000, v2
	v_med3_i32 v8, v8, 0, 13
	v_lshrrev_b32_e32 v9, v8, v4
	v_lshlrev_b32_e32 v8, v8, v9
	v_cmp_ne_u32_e32 vcc, v8, v4
	v_cndmask_b32_e64 v4, 0, 1, vcc
	v_add_u32_e32 v6, 0xfffffc10, v6
	v_or_b32_e32 v4, v9, v4
	v_lshl_or_b32 v8, v6, 12, v2
	v_cmp_gt_i32_e32 vcc, 1, v6
	v_cndmask_b32_e32 v4, v8, v4, vcc
	v_and_b32_e32 v8, 7, v4
	v_cmp_lt_i32_e32 vcc, 5, v8
	v_cmp_eq_u32_e64 s[0:1], 3, v8
	ds_read2_b32 v[8:9], v129 offset1:196
	v_lshrrev_b32_e32 v4, 2, v4
	s_or_b64 vcc, s[0:1], vcc
	v_addc_co_u32_e32 v4, vcc, 0, v4, vcc
	s_waitcnt lgkmcnt(0)
	v_lshrrev_b32_e32 v17, 16, v8
	v_mul_f16_sdwa v11, v118, v17 dst_sel:DWORD dst_unused:UNUSED_PAD src0_sel:WORD_1 src1_sel:DWORD
	v_fma_f16 v11, v118, v8, v11
	v_cvt_f32_f16_e32 v11, v11
	v_cmp_gt_i32_e32 vcc, 31, v6
	v_cndmask_b32_e32 v4, v14, v4, vcc
	v_cmp_ne_u32_e32 vcc, 0, v2
	v_cvt_f64_f32_e32 v[15:16], v11
	v_cndmask_b32_e64 v2, 0, 1, vcc
	v_lshl_or_b32 v2, v2, 9, v14
	v_cmp_eq_u32_e32 vcc, s10, v6
	v_cndmask_b32_e32 v2, v4, v2, vcc
	v_lshrrev_b32_e32 v4, 16, v10
	v_mul_f64 v[10:11], v[15:16], s[2:3]
	v_and_or_b32 v2, v4, s14, v2
	v_and_b32_e32 v0, 0xffff, v0
	v_lshl_or_b32 v0, v2, 16, v0
	v_mov_b32_e32 v2, s4
	v_add_co_u32_e32 v12, vcc, s5, v12
	v_addc_co_u32_e32 v13, vcc, v13, v2, vcc
	global_store_dword v[12:13], v0, off
	v_and_or_b32 v0, v11, s6, v10
	v_cmp_ne_u32_e32 vcc, 0, v0
	v_cndmask_b32_e64 v0, 0, 1, vcc
	v_lshrrev_b32_e32 v2, 8, v11
	v_bfe_u32 v4, v11, 20, 11
	v_mul_f16_sdwa v8, v118, v8 dst_sel:DWORD dst_unused:UNUSED_PAD src0_sel:WORD_1 src1_sel:DWORD
	v_and_or_b32 v0, v2, s7, v0
	v_sub_u32_e32 v6, 0x3f1, v4
	v_fma_f16 v8, v118, v17, -v8
	v_or_b32_e32 v2, 0x1000, v0
	v_med3_i32 v6, v6, 0, 13
	v_cvt_f32_f16_e32 v8, v8
	v_lshrrev_b32_e32 v10, v6, v2
	v_lshlrev_b32_e32 v6, v6, v10
	v_cmp_ne_u32_e32 vcc, v6, v2
	v_cndmask_b32_e64 v2, 0, 1, vcc
	v_add_u32_e32 v4, 0xfffffc10, v4
	v_cvt_f64_f32_e32 v[15:16], v8
	v_or_b32_e32 v2, v10, v2
	v_lshl_or_b32 v6, v4, 12, v0
	v_cmp_gt_i32_e32 vcc, 1, v4
	v_cndmask_b32_e32 v2, v6, v2, vcc
	v_and_b32_e32 v6, 7, v2
	v_cmp_lt_i32_e32 vcc, 5, v6
	v_cmp_eq_u32_e64 s[0:1], 3, v6
	v_mul_f64 v[15:16], v[15:16], s[2:3]
	v_lshrrev_b32_e32 v2, 2, v2
	s_or_b64 vcc, s[0:1], vcc
	v_addc_co_u32_e32 v2, vcc, 0, v2, vcc
	v_cmp_gt_i32_e32 vcc, 31, v4
	v_cndmask_b32_e32 v2, v14, v2, vcc
	v_cmp_ne_u32_e32 vcc, 0, v0
	v_cndmask_b32_e64 v0, 0, 1, vcc
	v_lshl_or_b32 v0, v0, 9, v14
	v_cmp_eq_u32_e32 vcc, s10, v4
	v_cndmask_b32_e32 v0, v2, v0, vcc
	v_lshrrev_b32_e32 v2, 16, v11
	v_and_or_b32 v0, v2, s14, v0
	v_and_or_b32 v2, v16, s6, v15
	v_cmp_ne_u32_e32 vcc, 0, v2
	v_cndmask_b32_e64 v2, 0, 1, vcc
	v_lshrrev_b32_e32 v4, 8, v16
	v_bfe_u32 v6, v16, 20, 11
	v_and_or_b32 v2, v4, s7, v2
	v_sub_u32_e32 v8, 0x3f1, v6
	v_or_b32_e32 v4, 0x1000, v2
	v_med3_i32 v8, v8, 0, 13
	v_lshrrev_b32_e32 v10, v8, v4
	v_lshlrev_b32_e32 v8, v8, v10
	v_cmp_ne_u32_e32 vcc, v8, v4
	v_cndmask_b32_e64 v4, 0, 1, vcc
	v_or_b32_e32 v4, v10, v4
	ds_read2_b32 v[10:11], v128 offset0:16 offset1:212
	v_add_u32_e32 v6, 0xfffffc10, v6
	v_lshl_or_b32 v8, v6, 12, v2
	v_cmp_gt_i32_e32 vcc, 1, v6
	v_cndmask_b32_e32 v4, v8, v4, vcc
	v_and_b32_e32 v8, 7, v4
	v_cmp_lt_i32_e32 vcc, 5, v8
	v_cmp_eq_u32_e64 s[0:1], 3, v8
	s_waitcnt lgkmcnt(0)
	v_lshrrev_b32_e32 v8, 16, v10
	v_mul_f16_sdwa v15, v122, v8 dst_sel:DWORD dst_unused:UNUSED_PAD src0_sel:WORD_1 src1_sel:DWORD
	v_fma_f16 v15, v122, v10, v15
	v_cvt_f32_f16_e32 v15, v15
	v_lshrrev_b32_e32 v4, 2, v4
	s_or_b64 vcc, s[0:1], vcc
	v_addc_co_u32_e32 v4, vcc, 0, v4, vcc
	v_cmp_gt_i32_e32 vcc, 31, v6
	v_cvt_f64_f32_e32 v[17:18], v15
	v_cndmask_b32_e32 v4, v14, v4, vcc
	v_cmp_ne_u32_e32 vcc, 0, v2
	v_cndmask_b32_e64 v2, 0, 1, vcc
	v_lshl_or_b32 v2, v2, 9, v14
	v_cmp_eq_u32_e32 vcc, s10, v6
	v_cndmask_b32_e32 v2, v4, v2, vcc
	v_lshrrev_b32_e32 v4, 16, v16
	v_mul_f64 v[15:16], v[17:18], s[2:3]
	v_and_or_b32 v2, v4, s14, v2
	v_and_b32_e32 v0, 0xffff, v0
	v_lshl_or_b32 v0, v2, 16, v0
	v_mov_b32_e32 v2, s4
	v_add_co_u32_e32 v17, vcc, s5, v12
	v_addc_co_u32_e32 v18, vcc, v13, v2, vcc
	global_store_dword v[17:18], v0, off
	v_and_or_b32 v0, v16, s6, v15
	v_cmp_ne_u32_e32 vcc, 0, v0
	v_cndmask_b32_e64 v0, 0, 1, vcc
	v_lshrrev_b32_e32 v2, 8, v16
	v_bfe_u32 v4, v16, 20, 11
	v_and_or_b32 v0, v2, s7, v0
	v_sub_u32_e32 v6, 0x3f1, v4
	v_mul_f16_sdwa v10, v122, v10 dst_sel:DWORD dst_unused:UNUSED_PAD src0_sel:WORD_1 src1_sel:DWORD
	v_or_b32_e32 v2, 0x1000, v0
	v_med3_i32 v6, v6, 0, 13
	v_fma_f16 v8, v122, v8, -v10
	v_lshrrev_b32_e32 v12, v6, v2
	v_cvt_f32_f16_e32 v8, v8
	v_lshlrev_b32_e32 v6, v6, v12
	v_cmp_ne_u32_e32 vcc, v6, v2
	v_cndmask_b32_e64 v2, 0, 1, vcc
	v_or_b32_e32 v2, v12, v2
	v_add_u32_e32 v4, 0xfffffc10, v4
	v_cvt_f64_f32_e32 v[12:13], v8
	v_lshl_or_b32 v6, v4, 12, v0
	v_cmp_gt_i32_e32 vcc, 1, v4
	v_cndmask_b32_e32 v2, v6, v2, vcc
	v_and_b32_e32 v6, 7, v2
	v_cmp_lt_i32_e32 vcc, 5, v6
	v_cmp_eq_u32_e64 s[0:1], 3, v6
	v_mul_f64 v[19:20], v[12:13], s[2:3]
	v_lshrrev_b32_e32 v2, 2, v2
	s_or_b64 vcc, s[0:1], vcc
	v_addc_co_u32_e32 v2, vcc, 0, v2, vcc
	v_cmp_gt_i32_e32 vcc, 31, v4
	v_cndmask_b32_e32 v2, v14, v2, vcc
	v_cmp_ne_u32_e32 vcc, 0, v0
	v_cndmask_b32_e64 v0, 0, 1, vcc
	v_lshl_or_b32 v0, v0, 9, v14
	v_cmp_eq_u32_e32 vcc, s10, v4
	v_cndmask_b32_e32 v0, v2, v0, vcc
	v_lshrrev_b32_e32 v2, 16, v16
	v_and_or_b32 v0, v2, s14, v0
	v_and_or_b32 v2, v20, s6, v19
	v_cmp_ne_u32_e32 vcc, 0, v2
	v_cndmask_b32_e64 v2, 0, 1, vcc
	v_lshrrev_b32_e32 v4, 8, v20
	v_bfe_u32 v6, v20, 20, 11
	v_and_or_b32 v2, v4, s7, v2
	v_sub_u32_e32 v8, 0x3f1, v6
	v_or_b32_e32 v4, 0x1000, v2
	v_med3_i32 v8, v8, 0, 13
	v_lshrrev_b32_e32 v10, v8, v4
	v_lshlrev_b32_e32 v8, v8, v10
	v_cmp_ne_u32_e32 vcc, v8, v4
	ds_read2_b32 v[12:13], v127 offset0:32 offset1:228
	v_cndmask_b32_e64 v4, 0, 1, vcc
	v_add_u32_e32 v6, 0xfffffc10, v6
	v_or_b32_e32 v4, v10, v4
	v_lshl_or_b32 v8, v6, 12, v2
	v_cmp_gt_i32_e32 vcc, 1, v6
	v_cndmask_b32_e32 v4, v8, v4, vcc
	v_and_b32_e32 v8, 7, v4
	v_cmp_lt_i32_e32 vcc, 5, v8
	v_cmp_eq_u32_e64 s[0:1], 3, v8
	s_waitcnt lgkmcnt(0)
	v_lshrrev_b32_e32 v8, 16, v12
	v_mul_f16_sdwa v10, v120, v8 dst_sel:DWORD dst_unused:UNUSED_PAD src0_sel:WORD_1 src1_sel:DWORD
	v_fma_f16 v10, v120, v12, v10
	v_cvt_f32_f16_e32 v10, v10
	v_lshrrev_b32_e32 v4, 2, v4
	s_or_b64 vcc, s[0:1], vcc
	v_addc_co_u32_e32 v4, vcc, 0, v4, vcc
	v_cvt_f64_f32_e32 v[15:16], v10
	v_cmp_gt_i32_e32 vcc, 31, v6
	v_cndmask_b32_e32 v4, v14, v4, vcc
	v_cmp_ne_u32_e32 vcc, 0, v2
	v_mul_f64 v[15:16], v[15:16], s[2:3]
	v_cndmask_b32_e64 v2, 0, 1, vcc
	v_lshl_or_b32 v2, v2, 9, v14
	v_cmp_eq_u32_e32 vcc, s10, v6
	v_cndmask_b32_e32 v2, v4, v2, vcc
	v_lshrrev_b32_e32 v4, 16, v20
	v_and_or_b32 v2, v4, s14, v2
	v_and_b32_e32 v0, 0xffff, v0
	v_lshl_or_b32 v0, v2, 16, v0
	v_mov_b32_e32 v2, s4
	v_add_co_u32_e32 v17, vcc, s5, v17
	v_addc_co_u32_e32 v18, vcc, v18, v2, vcc
	global_store_dword v[17:18], v0, off
	v_and_or_b32 v0, v16, s6, v15
	v_cmp_ne_u32_e32 vcc, 0, v0
	v_cndmask_b32_e64 v0, 0, 1, vcc
	v_lshrrev_b32_e32 v2, 8, v16
	v_bfe_u32 v4, v16, 20, 11
	v_and_or_b32 v0, v2, s7, v0
	v_sub_u32_e32 v6, 0x3f1, v4
	v_or_b32_e32 v2, 0x1000, v0
	v_med3_i32 v6, v6, 0, 13
	v_lshrrev_b32_e32 v10, v6, v2
	v_lshlrev_b32_e32 v6, v6, v10
	v_cmp_ne_u32_e32 vcc, v6, v2
	v_cndmask_b32_e64 v2, 0, 1, vcc
	v_or_b32_e32 v2, v10, v2
	v_mul_f16_sdwa v10, v120, v12 dst_sel:DWORD dst_unused:UNUSED_PAD src0_sel:WORD_1 src1_sel:DWORD
	v_fma_f16 v8, v120, v8, -v10
	v_cvt_f32_f16_e32 v8, v8
	v_add_u32_e32 v4, 0xfffffc10, v4
	v_lshl_or_b32 v6, v4, 12, v0
	v_cmp_gt_i32_e32 vcc, 1, v4
	v_cvt_f64_f32_e32 v[19:20], v8
	v_cndmask_b32_e32 v2, v6, v2, vcc
	v_and_b32_e32 v6, 7, v2
	v_cmp_lt_i32_e32 vcc, 5, v6
	v_cmp_eq_u32_e64 s[0:1], 3, v6
	v_mul_f64 v[19:20], v[19:20], s[2:3]
	v_lshrrev_b32_e32 v2, 2, v2
	s_or_b64 vcc, s[0:1], vcc
	v_addc_co_u32_e32 v2, vcc, 0, v2, vcc
	v_cmp_gt_i32_e32 vcc, 31, v4
	v_cndmask_b32_e32 v2, v14, v2, vcc
	v_cmp_ne_u32_e32 vcc, 0, v0
	v_cndmask_b32_e64 v0, 0, 1, vcc
	v_lshl_or_b32 v0, v0, 9, v14
	v_cmp_eq_u32_e32 vcc, s10, v4
	v_cndmask_b32_e32 v0, v2, v0, vcc
	v_lshrrev_b32_e32 v2, 16, v16
	v_and_or_b32 v0, v2, s14, v0
	v_and_or_b32 v2, v20, s6, v19
	v_cmp_ne_u32_e32 vcc, 0, v2
	v_cndmask_b32_e64 v2, 0, 1, vcc
	v_lshrrev_b32_e32 v4, 8, v20
	v_bfe_u32 v6, v20, 20, 11
	v_and_or_b32 v2, v4, s7, v2
	v_sub_u32_e32 v8, 0x3f1, v6
	v_or_b32_e32 v4, 0x1000, v2
	v_med3_i32 v8, v8, 0, 13
	v_lshrrev_b32_e32 v10, v8, v4
	v_lshlrev_b32_e32 v8, v8, v10
	v_cmp_ne_u32_e32 vcc, v8, v4
	v_cndmask_b32_e64 v4, 0, 1, vcc
	v_add_u32_e32 v6, 0xfffffc10, v6
	v_or_b32_e32 v4, v10, v4
	v_lshl_or_b32 v8, v6, 12, v2
	v_cmp_gt_i32_e32 vcc, 1, v6
	v_cndmask_b32_e32 v4, v8, v4, vcc
	v_and_b32_e32 v8, 7, v4
	v_cmp_lt_i32_e32 vcc, 5, v8
	v_cmp_eq_u32_e64 s[0:1], 3, v8
	v_lshrrev_b32_e32 v8, 16, v1
	v_mul_f16_sdwa v10, v117, v8 dst_sel:DWORD dst_unused:UNUSED_PAD src0_sel:WORD_1 src1_sel:DWORD
	v_fma_f16 v10, v117, v1, v10
	v_cvt_f32_f16_e32 v10, v10
	v_lshrrev_b32_e32 v4, 2, v4
	s_or_b64 vcc, s[0:1], vcc
	v_addc_co_u32_e32 v4, vcc, 0, v4, vcc
	v_cvt_f64_f32_e32 v[15:16], v10
	v_cmp_gt_i32_e32 vcc, 31, v6
	v_cndmask_b32_e32 v4, v14, v4, vcc
	v_cmp_ne_u32_e32 vcc, 0, v2
	v_mul_f64 v[15:16], v[15:16], s[2:3]
	v_cndmask_b32_e64 v2, 0, 1, vcc
	v_lshl_or_b32 v2, v2, 9, v14
	v_cmp_eq_u32_e32 vcc, s10, v6
	v_cndmask_b32_e32 v2, v4, v2, vcc
	v_lshrrev_b32_e32 v4, 16, v20
	v_and_or_b32 v2, v4, s14, v2
	v_and_b32_e32 v0, 0xffff, v0
	v_lshl_or_b32 v0, v2, 16, v0
	v_mov_b32_e32 v2, s4
	v_add_co_u32_e32 v17, vcc, s5, v17
	v_addc_co_u32_e32 v18, vcc, v18, v2, vcc
	global_store_dword v[17:18], v0, off
	v_and_or_b32 v0, v16, s6, v15
	v_cmp_ne_u32_e32 vcc, 0, v0
	v_cndmask_b32_e64 v0, 0, 1, vcc
	v_lshrrev_b32_e32 v2, 8, v16
	v_bfe_u32 v4, v16, 20, 11
	v_and_or_b32 v2, v2, s7, v0
	v_sub_u32_e32 v6, 0x3f1, v4
	v_or_b32_e32 v0, 0x1000, v2
	v_med3_i32 v6, v6, 0, 13
	v_lshrrev_b32_e32 v10, v6, v0
	v_lshlrev_b32_e32 v6, v6, v10
	v_mul_f16_sdwa v1, v117, v1 dst_sel:DWORD dst_unused:UNUSED_PAD src0_sel:WORD_1 src1_sel:DWORD
	v_cmp_ne_u32_e32 vcc, v6, v0
	v_fma_f16 v1, v117, v8, -v1
	v_cndmask_b32_e64 v0, 0, 1, vcc
	v_add_u32_e32 v4, 0xfffffc10, v4
	v_cvt_f32_f16_e32 v1, v1
	v_or_b32_e32 v0, v10, v0
	v_lshl_or_b32 v6, v4, 12, v2
	v_cmp_gt_i32_e32 vcc, 1, v4
	v_cndmask_b32_e32 v0, v6, v0, vcc
	v_and_b32_e32 v6, 7, v0
	v_cmp_lt_i32_e32 vcc, 5, v6
	v_cmp_eq_u32_e64 s[0:1], 3, v6
	v_lshrrev_b32_e32 v6, 2, v0
	v_cvt_f64_f32_e32 v[0:1], v1
	s_or_b64 vcc, s[0:1], vcc
	v_addc_co_u32_e32 v6, vcc, 0, v6, vcc
	v_mul_f64 v[0:1], v[0:1], s[2:3]
	v_cmp_gt_i32_e32 vcc, 31, v4
	v_cndmask_b32_e32 v6, v14, v6, vcc
	v_cmp_ne_u32_e32 vcc, 0, v2
	v_cndmask_b32_e64 v2, 0, 1, vcc
	v_lshl_or_b32 v2, v2, 9, v14
	v_cmp_eq_u32_e32 vcc, s10, v4
	v_cndmask_b32_e32 v2, v6, v2, vcc
	v_and_or_b32 v0, v1, s6, v0
	v_lshrrev_b32_e32 v4, 16, v16
	v_cmp_ne_u32_e32 vcc, 0, v0
	v_and_or_b32 v2, v4, s14, v2
	v_cndmask_b32_e64 v0, 0, 1, vcc
	v_lshrrev_b32_e32 v4, 8, v1
	v_bfe_u32 v6, v1, 20, 11
	v_and_or_b32 v0, v4, s7, v0
	v_sub_u32_e32 v8, 0x3f1, v6
	v_or_b32_e32 v4, 0x1000, v0
	v_med3_i32 v8, v8, 0, 13
	v_lshrrev_b32_e32 v10, v8, v4
	v_lshlrev_b32_e32 v8, v8, v10
	v_cmp_ne_u32_e32 vcc, v8, v4
	v_cndmask_b32_e64 v4, 0, 1, vcc
	v_add_u32_e32 v6, 0xfffffc10, v6
	v_or_b32_e32 v4, v10, v4
	v_lshl_or_b32 v8, v6, 12, v0
	v_cmp_gt_i32_e32 vcc, 1, v6
	v_cndmask_b32_e32 v4, v8, v4, vcc
	v_and_b32_e32 v8, 7, v4
	v_cmp_lt_i32_e32 vcc, 5, v8
	v_cmp_eq_u32_e64 s[0:1], 3, v8
	v_lshrrev_b32_e32 v4, 2, v4
	s_or_b64 vcc, s[0:1], vcc
	v_addc_co_u32_e32 v4, vcc, 0, v4, vcc
	v_cmp_gt_i32_e32 vcc, 31, v6
	v_cndmask_b32_e32 v4, v14, v4, vcc
	v_cmp_ne_u32_e32 vcc, 0, v0
	v_cndmask_b32_e64 v0, 0, 1, vcc
	v_lshl_or_b32 v0, v0, 9, v14
	v_cmp_eq_u32_e32 vcc, s10, v6
	v_cndmask_b32_e32 v0, v4, v0, vcc
	v_lshrrev_b32_e32 v1, 16, v1
	v_lshrrev_b32_e32 v4, 16, v3
	v_and_or_b32 v0, v1, s14, v0
	v_mul_f16_sdwa v1, v114, v4 dst_sel:DWORD dst_unused:UNUSED_PAD src0_sel:WORD_1 src1_sel:DWORD
	v_fma_f16 v1, v114, v3, v1
	v_cvt_f32_f16_e32 v1, v1
	v_and_b32_e32 v2, 0xffff, v2
	v_lshl_or_b32 v2, v0, 16, v2
	s_mul_hi_u32 s1, s8, 0xffffb990
	v_cvt_f64_f32_e32 v[0:1], v1
	s_mul_i32 s0, s9, 0xffffb990
	s_sub_i32 s9, s1, s8
	s_add_i32 s9, s9, s0
	v_mul_f64 v[0:1], v[0:1], s[2:3]
	s_mulk_i32 s8, 0xb990
	v_mov_b32_e32 v6, s9
	v_add_co_u32_e32 v15, vcc, s8, v17
	v_addc_co_u32_e32 v16, vcc, v18, v6, vcc
	global_store_dword v[15:16], v2, off
	v_and_or_b32 v0, v1, s6, v0
	v_cmp_ne_u32_e32 vcc, 0, v0
	v_cndmask_b32_e64 v0, 0, 1, vcc
	v_lshrrev_b32_e32 v2, 8, v1
	v_bfe_u32 v6, v1, 20, 11
	v_and_or_b32 v0, v2, s7, v0
	v_sub_u32_e32 v8, 0x3f1, v6
	v_or_b32_e32 v2, 0x1000, v0
	v_med3_i32 v8, v8, 0, 13
	v_lshrrev_b32_e32 v10, v8, v2
	v_mul_f16_sdwa v3, v114, v3 dst_sel:DWORD dst_unused:UNUSED_PAD src0_sel:WORD_1 src1_sel:DWORD
	v_lshlrev_b32_e32 v8, v8, v10
	v_fma_f16 v3, v114, v4, -v3
	v_cmp_ne_u32_e32 vcc, v8, v2
	v_cvt_f32_f16_e32 v3, v3
	v_cndmask_b32_e64 v2, 0, 1, vcc
	v_add_u32_e32 v6, 0xfffffc10, v6
	v_or_b32_e32 v2, v10, v2
	v_lshl_or_b32 v8, v6, 12, v0
	v_cmp_gt_i32_e32 vcc, 1, v6
	v_cndmask_b32_e32 v2, v8, v2, vcc
	v_and_b32_e32 v8, 7, v2
	v_lshrrev_b32_e32 v4, 2, v2
	v_cvt_f64_f32_e32 v[2:3], v3
	v_cmp_lt_i32_e32 vcc, 5, v8
	v_cmp_eq_u32_e64 s[0:1], 3, v8
	s_or_b64 vcc, s[0:1], vcc
	v_mul_f64 v[2:3], v[2:3], s[2:3]
	v_addc_co_u32_e32 v4, vcc, 0, v4, vcc
	v_cmp_gt_i32_e32 vcc, 31, v6
	v_cndmask_b32_e32 v4, v14, v4, vcc
	v_cmp_ne_u32_e32 vcc, 0, v0
	v_cndmask_b32_e64 v0, 0, 1, vcc
	v_lshl_or_b32 v0, v0, 9, v14
	v_cmp_eq_u32_e32 vcc, s10, v6
	v_cndmask_b32_e32 v0, v4, v0, vcc
	v_lshrrev_b32_e32 v1, 16, v1
	v_and_or_b32 v4, v1, s14, v0
	v_and_or_b32 v0, v3, s6, v2
	v_cmp_ne_u32_e32 vcc, 0, v0
	v_cndmask_b32_e64 v0, 0, 1, vcc
	v_lshrrev_b32_e32 v1, 8, v3
	v_bfe_u32 v2, v3, 20, 11
	v_and_or_b32 v0, v1, s7, v0
	v_sub_u32_e32 v6, 0x3f1, v2
	v_or_b32_e32 v1, 0x1000, v0
	v_med3_i32 v6, v6, 0, 13
	v_lshrrev_b32_e32 v8, v6, v1
	v_lshlrev_b32_e32 v6, v6, v8
	v_cmp_ne_u32_e32 vcc, v6, v1
	v_cndmask_b32_e64 v1, 0, 1, vcc
	v_add_u32_e32 v2, 0xfffffc10, v2
	v_or_b32_e32 v1, v8, v1
	v_lshl_or_b32 v6, v2, 12, v0
	v_cmp_gt_i32_e32 vcc, 1, v2
	v_cndmask_b32_e32 v1, v6, v1, vcc
	v_and_b32_e32 v6, 7, v1
	v_cmp_lt_i32_e32 vcc, 5, v6
	v_cmp_eq_u32_e64 s[0:1], 3, v6
	v_lshrrev_b32_e32 v6, 16, v5
	v_lshrrev_b32_e32 v1, 2, v1
	s_or_b64 vcc, s[0:1], vcc
	v_mul_f16_sdwa v8, v116, v6 dst_sel:DWORD dst_unused:UNUSED_PAD src0_sel:WORD_1 src1_sel:DWORD
	v_addc_co_u32_e32 v1, vcc, 0, v1, vcc
	v_fma_f16 v8, v116, v5, v8
	v_cmp_gt_i32_e32 vcc, 31, v2
	v_cvt_f32_f16_e32 v8, v8
	v_cndmask_b32_e32 v1, v14, v1, vcc
	v_cmp_ne_u32_e32 vcc, 0, v0
	v_cndmask_b32_e64 v0, 0, 1, vcc
	v_lshl_or_b32 v0, v0, 9, v14
	v_cmp_eq_u32_e32 vcc, s10, v2
	v_cndmask_b32_e32 v2, v1, v0, vcc
	v_cvt_f64_f32_e32 v[0:1], v8
	v_lshrrev_b32_e32 v3, 16, v3
	v_and_or_b32 v2, v3, s14, v2
	v_and_b32_e32 v3, 0xffff, v4
	v_mul_f64 v[0:1], v[0:1], s[2:3]
	v_lshl_or_b32 v4, v2, 16, v3
	v_mov_b32_e32 v3, s4
	v_add_co_u32_e32 v2, vcc, s5, v15
	v_addc_co_u32_e32 v3, vcc, v16, v3, vcc
	global_store_dword v[2:3], v4, off
	v_and_or_b32 v0, v1, s6, v0
	v_cmp_ne_u32_e32 vcc, 0, v0
	v_cndmask_b32_e64 v0, 0, 1, vcc
	v_lshrrev_b32_e32 v4, 8, v1
	v_bfe_u32 v8, v1, 20, 11
	v_and_or_b32 v0, v4, s7, v0
	v_sub_u32_e32 v10, 0x3f1, v8
	v_or_b32_e32 v4, 0x1000, v0
	v_med3_i32 v10, v10, 0, 13
	v_lshrrev_b32_e32 v12, v10, v4
	v_mul_f16_sdwa v5, v116, v5 dst_sel:DWORD dst_unused:UNUSED_PAD src0_sel:WORD_1 src1_sel:DWORD
	v_lshlrev_b32_e32 v10, v10, v12
	v_fma_f16 v5, v116, v6, -v5
	v_cmp_ne_u32_e32 vcc, v10, v4
	v_cvt_f32_f16_e32 v5, v5
	v_cndmask_b32_e64 v4, 0, 1, vcc
	v_add_u32_e32 v8, 0xfffffc10, v8
	v_or_b32_e32 v4, v12, v4
	v_lshl_or_b32 v10, v8, 12, v0
	v_cmp_gt_i32_e32 vcc, 1, v8
	v_cndmask_b32_e32 v4, v10, v4, vcc
	v_and_b32_e32 v10, 7, v4
	v_lshrrev_b32_e32 v6, 2, v4
	v_cvt_f64_f32_e32 v[4:5], v5
	v_cmp_lt_i32_e32 vcc, 5, v10
	v_cmp_eq_u32_e64 s[0:1], 3, v10
	s_or_b64 vcc, s[0:1], vcc
	v_mul_f64 v[4:5], v[4:5], s[2:3]
	v_addc_co_u32_e32 v6, vcc, 0, v6, vcc
	v_cmp_gt_i32_e32 vcc, 31, v8
	v_cndmask_b32_e32 v6, v14, v6, vcc
	v_cmp_ne_u32_e32 vcc, 0, v0
	v_cndmask_b32_e64 v0, 0, 1, vcc
	v_lshl_or_b32 v0, v0, 9, v14
	v_cmp_eq_u32_e32 vcc, s10, v8
	v_cndmask_b32_e32 v0, v6, v0, vcc
	v_lshrrev_b32_e32 v1, 16, v1
	v_and_or_b32 v6, v1, s14, v0
	v_and_or_b32 v0, v5, s6, v4
	v_cmp_ne_u32_e32 vcc, 0, v0
	v_cndmask_b32_e64 v0, 0, 1, vcc
	v_lshrrev_b32_e32 v1, 8, v5
	v_bfe_u32 v4, v5, 20, 11
	v_and_or_b32 v0, v1, s7, v0
	v_sub_u32_e32 v8, 0x3f1, v4
	v_or_b32_e32 v1, 0x1000, v0
	v_med3_i32 v8, v8, 0, 13
	v_lshrrev_b32_e32 v10, v8, v1
	v_lshlrev_b32_e32 v8, v8, v10
	v_cmp_ne_u32_e32 vcc, v8, v1
	v_cndmask_b32_e64 v1, 0, 1, vcc
	v_add_u32_e32 v4, 0xfffffc10, v4
	v_or_b32_e32 v1, v10, v1
	v_lshl_or_b32 v8, v4, 12, v0
	v_cmp_gt_i32_e32 vcc, 1, v4
	v_cndmask_b32_e32 v1, v8, v1, vcc
	v_and_b32_e32 v8, 7, v1
	v_cmp_lt_i32_e32 vcc, 5, v8
	v_cmp_eq_u32_e64 s[0:1], 3, v8
	v_lshrrev_b32_e32 v8, 16, v7
	v_lshrrev_b32_e32 v1, 2, v1
	s_or_b64 vcc, s[0:1], vcc
	v_mul_f16_sdwa v10, v115, v8 dst_sel:DWORD dst_unused:UNUSED_PAD src0_sel:WORD_1 src1_sel:DWORD
	v_addc_co_u32_e32 v1, vcc, 0, v1, vcc
	v_fma_f16 v10, v115, v7, v10
	v_cmp_gt_i32_e32 vcc, 31, v4
	v_cvt_f32_f16_e32 v10, v10
	v_cndmask_b32_e32 v1, v14, v1, vcc
	v_cmp_ne_u32_e32 vcc, 0, v0
	v_cndmask_b32_e64 v0, 0, 1, vcc
	v_lshl_or_b32 v0, v0, 9, v14
	v_cmp_eq_u32_e32 vcc, s10, v4
	v_cndmask_b32_e32 v4, v1, v0, vcc
	v_cvt_f64_f32_e32 v[0:1], v10
	v_lshrrev_b32_e32 v5, 16, v5
	v_and_or_b32 v4, v5, s14, v4
	v_and_b32_e32 v5, 0xffff, v6
	v_mul_f64 v[0:1], v[0:1], s[2:3]
	v_lshl_or_b32 v4, v4, 16, v5
	v_mov_b32_e32 v5, s4
	v_add_co_u32_e32 v2, vcc, s5, v2
	v_addc_co_u32_e32 v3, vcc, v3, v5, vcc
	global_store_dword v[2:3], v4, off
	v_and_or_b32 v0, v1, s6, v0
	v_cmp_ne_u32_e32 vcc, 0, v0
	v_cndmask_b32_e64 v0, 0, 1, vcc
	v_lshrrev_b32_e32 v4, 8, v1
	v_bfe_u32 v5, v1, 20, 11
	v_and_or_b32 v0, v4, s7, v0
	v_sub_u32_e32 v6, 0x3f1, v5
	v_or_b32_e32 v4, 0x1000, v0
	v_med3_i32 v6, v6, 0, 13
	v_lshrrev_b32_e32 v10, v6, v4
	v_lshlrev_b32_e32 v6, v6, v10
	v_mul_f16_sdwa v7, v115, v7 dst_sel:DWORD dst_unused:UNUSED_PAD src0_sel:WORD_1 src1_sel:DWORD
	v_cmp_ne_u32_e32 vcc, v6, v4
	v_fma_f16 v7, v115, v8, -v7
	v_cndmask_b32_e64 v4, 0, 1, vcc
	v_add_u32_e32 v6, 0xfffffc10, v5
	v_cvt_f32_f16_e32 v7, v7
	v_or_b32_e32 v4, v10, v4
	v_lshl_or_b32 v5, v6, 12, v0
	v_cmp_gt_i32_e32 vcc, 1, v6
	v_cndmask_b32_e32 v4, v5, v4, vcc
	v_and_b32_e32 v5, 7, v4
	v_cmp_lt_i32_e32 vcc, 5, v5
	v_cmp_eq_u32_e64 s[0:1], 3, v5
	v_lshrrev_b32_e32 v8, 2, v4
	v_cvt_f64_f32_e32 v[4:5], v7
	s_or_b64 vcc, s[0:1], vcc
	v_addc_co_u32_e32 v7, vcc, 0, v8, vcc
	v_mul_f64 v[4:5], v[4:5], s[2:3]
	v_cmp_gt_i32_e32 vcc, 31, v6
	v_cndmask_b32_e32 v7, v14, v7, vcc
	v_cmp_ne_u32_e32 vcc, 0, v0
	v_cndmask_b32_e64 v0, 0, 1, vcc
	v_lshl_or_b32 v0, v0, 9, v14
	v_cmp_eq_u32_e32 vcc, s10, v6
	v_cndmask_b32_e32 v0, v7, v0, vcc
	v_lshrrev_b32_e32 v1, 16, v1
	v_and_or_b32 v6, v1, s14, v0
	v_and_or_b32 v0, v5, s6, v4
	v_cmp_ne_u32_e32 vcc, 0, v0
	v_cndmask_b32_e64 v0, 0, 1, vcc
	v_lshrrev_b32_e32 v1, 8, v5
	v_bfe_u32 v4, v5, 20, 11
	v_and_or_b32 v0, v1, s7, v0
	v_sub_u32_e32 v7, 0x3f1, v4
	v_or_b32_e32 v1, 0x1000, v0
	v_med3_i32 v7, v7, 0, 13
	v_lshrrev_b32_e32 v8, v7, v1
	v_lshlrev_b32_e32 v7, v7, v8
	v_cmp_ne_u32_e32 vcc, v7, v1
	v_cndmask_b32_e64 v1, 0, 1, vcc
	v_add_u32_e32 v4, 0xfffffc10, v4
	v_or_b32_e32 v1, v8, v1
	v_lshl_or_b32 v7, v4, 12, v0
	v_cmp_gt_i32_e32 vcc, 1, v4
	v_cndmask_b32_e32 v1, v7, v1, vcc
	v_and_b32_e32 v7, 7, v1
	v_cmp_lt_i32_e32 vcc, 5, v7
	v_cmp_eq_u32_e64 s[0:1], 3, v7
	v_lshrrev_b32_e32 v7, 16, v9
	v_lshrrev_b32_e32 v1, 2, v1
	s_or_b64 vcc, s[0:1], vcc
	v_mul_f16_sdwa v8, v112, v7 dst_sel:DWORD dst_unused:UNUSED_PAD src0_sel:WORD_1 src1_sel:DWORD
	v_addc_co_u32_e32 v1, vcc, 0, v1, vcc
	v_fma_f16 v8, v112, v9, v8
	v_cmp_gt_i32_e32 vcc, 31, v4
	v_cvt_f32_f16_e32 v8, v8
	v_cndmask_b32_e32 v1, v14, v1, vcc
	v_cmp_ne_u32_e32 vcc, 0, v0
	v_cndmask_b32_e64 v0, 0, 1, vcc
	v_lshl_or_b32 v0, v0, 9, v14
	v_cmp_eq_u32_e32 vcc, s10, v4
	v_cndmask_b32_e32 v4, v1, v0, vcc
	v_cvt_f64_f32_e32 v[0:1], v8
	v_lshrrev_b32_e32 v5, 16, v5
	v_and_or_b32 v4, v5, s14, v4
	v_and_b32_e32 v5, 0xffff, v6
	v_mul_f64 v[0:1], v[0:1], s[2:3]
	v_lshl_or_b32 v4, v4, 16, v5
	v_mov_b32_e32 v5, s4
	v_add_co_u32_e32 v2, vcc, s5, v2
	v_addc_co_u32_e32 v3, vcc, v3, v5, vcc
	global_store_dword v[2:3], v4, off
	v_and_or_b32 v0, v1, s6, v0
	v_cmp_ne_u32_e32 vcc, 0, v0
	v_cndmask_b32_e64 v0, 0, 1, vcc
	v_lshrrev_b32_e32 v4, 8, v1
	v_bfe_u32 v5, v1, 20, 11
	v_and_or_b32 v0, v4, s7, v0
	v_sub_u32_e32 v6, 0x3f1, v5
	v_or_b32_e32 v4, 0x1000, v0
	v_med3_i32 v6, v6, 0, 13
	v_lshrrev_b32_e32 v8, v6, v4
	v_lshlrev_b32_e32 v6, v6, v8
	v_cmp_ne_u32_e32 vcc, v6, v4
	v_cndmask_b32_e64 v4, 0, 1, vcc
	v_or_b32_e32 v4, v8, v4
	v_mul_f16_sdwa v8, v112, v9 dst_sel:DWORD dst_unused:UNUSED_PAD src0_sel:WORD_1 src1_sel:DWORD
	v_fma_f16 v7, v112, v7, -v8
	v_add_u32_e32 v6, 0xfffffc10, v5
	v_cvt_f32_f16_e32 v7, v7
	v_lshl_or_b32 v5, v6, 12, v0
	v_cmp_gt_i32_e32 vcc, 1, v6
	v_cndmask_b32_e32 v4, v5, v4, vcc
	v_and_b32_e32 v5, 7, v4
	v_cmp_lt_i32_e32 vcc, 5, v5
	v_cmp_eq_u32_e64 s[0:1], 3, v5
	v_lshrrev_b32_e32 v8, 2, v4
	v_cvt_f64_f32_e32 v[4:5], v7
	s_or_b64 vcc, s[0:1], vcc
	v_addc_co_u32_e32 v7, vcc, 0, v8, vcc
	v_mul_f64 v[4:5], v[4:5], s[2:3]
	v_cmp_gt_i32_e32 vcc, 31, v6
	v_cndmask_b32_e32 v7, v14, v7, vcc
	v_cmp_ne_u32_e32 vcc, 0, v0
	v_cndmask_b32_e64 v0, 0, 1, vcc
	v_lshl_or_b32 v0, v0, 9, v14
	v_cmp_eq_u32_e32 vcc, s10, v6
	v_cndmask_b32_e32 v0, v7, v0, vcc
	v_lshrrev_b32_e32 v1, 16, v1
	v_and_or_b32 v6, v1, s14, v0
	v_and_or_b32 v0, v5, s6, v4
	v_cmp_ne_u32_e32 vcc, 0, v0
	v_cndmask_b32_e64 v0, 0, 1, vcc
	v_lshrrev_b32_e32 v1, 8, v5
	v_bfe_u32 v4, v5, 20, 11
	v_and_or_b32 v0, v1, s7, v0
	v_sub_u32_e32 v7, 0x3f1, v4
	v_or_b32_e32 v1, 0x1000, v0
	v_med3_i32 v7, v7, 0, 13
	v_lshrrev_b32_e32 v8, v7, v1
	v_lshlrev_b32_e32 v7, v7, v8
	v_cmp_ne_u32_e32 vcc, v7, v1
	v_cndmask_b32_e64 v1, 0, 1, vcc
	v_add_u32_e32 v4, 0xfffffc10, v4
	v_or_b32_e32 v1, v8, v1
	v_lshl_or_b32 v7, v4, 12, v0
	v_cmp_gt_i32_e32 vcc, 1, v4
	v_cndmask_b32_e32 v1, v7, v1, vcc
	v_and_b32_e32 v7, 7, v1
	v_cmp_lt_i32_e32 vcc, 5, v7
	v_cmp_eq_u32_e64 s[0:1], 3, v7
	v_lshrrev_b32_e32 v7, 16, v11
	v_lshrrev_b32_e32 v1, 2, v1
	s_or_b64 vcc, s[0:1], vcc
	v_mul_f16_sdwa v8, v110, v7 dst_sel:DWORD dst_unused:UNUSED_PAD src0_sel:WORD_1 src1_sel:DWORD
	v_addc_co_u32_e32 v1, vcc, 0, v1, vcc
	v_fma_f16 v8, v110, v11, v8
	v_cmp_gt_i32_e32 vcc, 31, v4
	v_cvt_f32_f16_e32 v8, v8
	v_cndmask_b32_e32 v1, v14, v1, vcc
	v_cmp_ne_u32_e32 vcc, 0, v0
	v_cndmask_b32_e64 v0, 0, 1, vcc
	v_lshl_or_b32 v0, v0, 9, v14
	v_cmp_eq_u32_e32 vcc, s10, v4
	v_cndmask_b32_e32 v4, v1, v0, vcc
	v_cvt_f64_f32_e32 v[0:1], v8
	v_lshrrev_b32_e32 v5, 16, v5
	v_and_or_b32 v4, v5, s14, v4
	v_and_b32_e32 v5, 0xffff, v6
	v_mul_f64 v[0:1], v[0:1], s[2:3]
	v_lshl_or_b32 v4, v4, 16, v5
	v_mov_b32_e32 v5, s4
	v_add_co_u32_e32 v2, vcc, s5, v2
	v_addc_co_u32_e32 v3, vcc, v3, v5, vcc
	global_store_dword v[2:3], v4, off
	v_and_or_b32 v0, v1, s6, v0
	v_cmp_ne_u32_e32 vcc, 0, v0
	v_cndmask_b32_e64 v0, 0, 1, vcc
	v_lshrrev_b32_e32 v4, 8, v1
	v_bfe_u32 v5, v1, 20, 11
	v_and_or_b32 v0, v4, s7, v0
	v_sub_u32_e32 v6, 0x3f1, v5
	v_or_b32_e32 v4, 0x1000, v0
	v_med3_i32 v6, v6, 0, 13
	v_lshrrev_b32_e32 v8, v6, v4
	v_lshlrev_b32_e32 v6, v6, v8
	v_cmp_ne_u32_e32 vcc, v6, v4
	v_cndmask_b32_e64 v4, 0, 1, vcc
	v_or_b32_e32 v4, v8, v4
	v_mul_f16_sdwa v8, v110, v11 dst_sel:DWORD dst_unused:UNUSED_PAD src0_sel:WORD_1 src1_sel:DWORD
	v_fma_f16 v7, v110, v7, -v8
	v_add_u32_e32 v6, 0xfffffc10, v5
	v_cvt_f32_f16_e32 v7, v7
	v_lshl_or_b32 v5, v6, 12, v0
	v_cmp_gt_i32_e32 vcc, 1, v6
	v_cndmask_b32_e32 v4, v5, v4, vcc
	v_and_b32_e32 v5, 7, v4
	v_cmp_lt_i32_e32 vcc, 5, v5
	v_cmp_eq_u32_e64 s[0:1], 3, v5
	v_lshrrev_b32_e32 v8, 2, v4
	v_cvt_f64_f32_e32 v[4:5], v7
	s_or_b64 vcc, s[0:1], vcc
	v_addc_co_u32_e32 v7, vcc, 0, v8, vcc
	v_mul_f64 v[4:5], v[4:5], s[2:3]
	v_cmp_gt_i32_e32 vcc, 31, v6
	v_cndmask_b32_e32 v7, v14, v7, vcc
	v_cmp_ne_u32_e32 vcc, 0, v0
	v_cndmask_b32_e64 v0, 0, 1, vcc
	v_lshl_or_b32 v0, v0, 9, v14
	v_cmp_eq_u32_e32 vcc, s10, v6
	v_cndmask_b32_e32 v0, v7, v0, vcc
	v_lshrrev_b32_e32 v1, 16, v1
	v_and_or_b32 v6, v1, s14, v0
	v_and_or_b32 v0, v5, s6, v4
	v_cmp_ne_u32_e32 vcc, 0, v0
	v_cndmask_b32_e64 v0, 0, 1, vcc
	v_lshrrev_b32_e32 v1, 8, v5
	v_bfe_u32 v4, v5, 20, 11
	v_and_or_b32 v0, v1, s7, v0
	v_sub_u32_e32 v7, 0x3f1, v4
	v_or_b32_e32 v1, 0x1000, v0
	v_med3_i32 v7, v7, 0, 13
	v_lshrrev_b32_e32 v8, v7, v1
	v_lshlrev_b32_e32 v7, v7, v8
	v_cmp_ne_u32_e32 vcc, v7, v1
	v_cndmask_b32_e64 v1, 0, 1, vcc
	v_add_u32_e32 v4, 0xfffffc10, v4
	v_or_b32_e32 v1, v8, v1
	v_lshl_or_b32 v7, v4, 12, v0
	v_cmp_gt_i32_e32 vcc, 1, v4
	v_cndmask_b32_e32 v1, v7, v1, vcc
	v_and_b32_e32 v7, 7, v1
	v_cmp_lt_i32_e32 vcc, 5, v7
	v_cmp_eq_u32_e64 s[0:1], 3, v7
	v_lshrrev_b32_e32 v7, 16, v13
	v_lshrrev_b32_e32 v1, 2, v1
	s_or_b64 vcc, s[0:1], vcc
	v_mul_f16_sdwa v8, v108, v7 dst_sel:DWORD dst_unused:UNUSED_PAD src0_sel:WORD_1 src1_sel:DWORD
	v_addc_co_u32_e32 v1, vcc, 0, v1, vcc
	v_fma_f16 v8, v108, v13, v8
	v_cmp_gt_i32_e32 vcc, 31, v4
	v_cvt_f32_f16_e32 v8, v8
	v_cndmask_b32_e32 v1, v14, v1, vcc
	v_cmp_ne_u32_e32 vcc, 0, v0
	v_cndmask_b32_e64 v0, 0, 1, vcc
	v_lshl_or_b32 v0, v0, 9, v14
	v_cmp_eq_u32_e32 vcc, s10, v4
	v_cndmask_b32_e32 v4, v1, v0, vcc
	v_cvt_f64_f32_e32 v[0:1], v8
	v_lshrrev_b32_e32 v5, 16, v5
	v_and_or_b32 v4, v5, s14, v4
	v_and_b32_e32 v5, 0xffff, v6
	v_mul_f64 v[0:1], v[0:1], s[2:3]
	v_lshl_or_b32 v4, v4, 16, v5
	v_mov_b32_e32 v5, s4
	v_add_co_u32_e32 v2, vcc, s5, v2
	v_addc_co_u32_e32 v3, vcc, v3, v5, vcc
	global_store_dword v[2:3], v4, off
	v_and_or_b32 v0, v1, s6, v0
	v_cmp_ne_u32_e32 vcc, 0, v0
	v_cndmask_b32_e64 v0, 0, 1, vcc
	v_lshrrev_b32_e32 v4, 8, v1
	v_bfe_u32 v5, v1, 20, 11
	v_and_or_b32 v0, v4, s7, v0
	v_sub_u32_e32 v6, 0x3f1, v5
	v_or_b32_e32 v4, 0x1000, v0
	v_med3_i32 v6, v6, 0, 13
	v_lshrrev_b32_e32 v8, v6, v4
	v_lshlrev_b32_e32 v6, v6, v8
	v_cmp_ne_u32_e32 vcc, v6, v4
	v_cndmask_b32_e64 v4, 0, 1, vcc
	v_or_b32_e32 v4, v8, v4
	v_mul_f16_sdwa v8, v108, v13 dst_sel:DWORD dst_unused:UNUSED_PAD src0_sel:WORD_1 src1_sel:DWORD
	v_fma_f16 v7, v108, v7, -v8
	v_add_u32_e32 v6, 0xfffffc10, v5
	v_cvt_f32_f16_e32 v7, v7
	v_lshl_or_b32 v5, v6, 12, v0
	v_cmp_gt_i32_e32 vcc, 1, v6
	v_cndmask_b32_e32 v4, v5, v4, vcc
	v_and_b32_e32 v5, 7, v4
	v_cmp_lt_i32_e32 vcc, 5, v5
	v_cmp_eq_u32_e64 s[0:1], 3, v5
	v_lshrrev_b32_e32 v8, 2, v4
	v_cvt_f64_f32_e32 v[4:5], v7
	s_or_b64 vcc, s[0:1], vcc
	v_addc_co_u32_e32 v7, vcc, 0, v8, vcc
	v_mul_f64 v[4:5], v[4:5], s[2:3]
	v_cmp_gt_i32_e32 vcc, 31, v6
	v_cndmask_b32_e32 v7, v14, v7, vcc
	v_cmp_ne_u32_e32 vcc, 0, v0
	v_cndmask_b32_e64 v0, 0, 1, vcc
	v_lshl_or_b32 v0, v0, 9, v14
	v_cmp_eq_u32_e32 vcc, s10, v6
	v_cndmask_b32_e32 v0, v7, v0, vcc
	v_lshrrev_b32_e32 v1, 16, v1
	v_and_or_b32 v8, v1, s14, v0
	v_and_or_b32 v0, v5, s6, v4
	v_cmp_ne_u32_e32 vcc, 0, v0
	v_cndmask_b32_e64 v0, 0, 1, vcc
	v_lshrrev_b32_e32 v1, 8, v5
	v_and_or_b32 v4, v1, s7, v0
	v_bfe_u32 v1, v5, 20, 11
	v_sub_u32_e32 v6, 0x3f1, v1
	v_or_b32_e32 v0, 0x1000, v4
	v_med3_i32 v6, v6, 0, 13
	v_lshrrev_b32_e32 v7, v6, v0
	v_lshlrev_b32_e32 v6, v6, v7
	v_cmp_ne_u32_e32 vcc, v6, v0
	v_cndmask_b32_e64 v0, 0, 1, vcc
	v_add_u32_e32 v6, 0xfffffc10, v1
	v_or_b32_e32 v0, v7, v0
	v_lshl_or_b32 v1, v6, 12, v4
	v_cmp_gt_i32_e32 vcc, 1, v6
	v_cndmask_b32_e32 v0, v1, v0, vcc
	v_and_b32_e32 v1, 7, v0
	v_cmp_lt_i32_e32 vcc, 5, v1
	v_cmp_eq_u32_e64 s[0:1], 3, v1
	v_lshrrev_b32_e32 v0, 2, v0
	s_or_b64 vcc, s[0:1], vcc
	v_addc_co_u32_e32 v7, vcc, 0, v0, vcc
	ds_read2_b32 v[0:1], v113 offset0:8 offset1:204
	v_cmp_gt_i32_e32 vcc, 31, v6
	v_cndmask_b32_e32 v7, v14, v7, vcc
	v_cmp_ne_u32_e32 vcc, 0, v4
	v_cndmask_b32_e64 v4, 0, 1, vcc
	s_waitcnt lgkmcnt(0)
	v_lshrrev_b32_e32 v9, 16, v0
	v_mul_f16_sdwa v10, v104, v9 dst_sel:DWORD dst_unused:UNUSED_PAD src0_sel:WORD_1 src1_sel:DWORD
	v_fma_f16 v10, v104, v0, v10
	v_cvt_f32_f16_e32 v10, v10
	v_lshl_or_b32 v4, v4, 9, v14
	v_cmp_eq_u32_e32 vcc, s10, v6
	v_cndmask_b32_e32 v4, v7, v4, vcc
	v_cvt_f64_f32_e32 v[6:7], v10
	v_lshrrev_b32_e32 v5, 16, v5
	v_and_or_b32 v10, v5, s14, v4
	v_and_b32_e32 v8, 0xffff, v8
	v_mul_f64 v[4:5], v[6:7], s[2:3]
	v_mov_b32_e32 v7, s4
	v_add_co_u32_e32 v6, vcc, s5, v2
	v_addc_co_u32_e32 v7, vcc, v3, v7, vcc
	v_lshl_or_b32 v8, v10, 16, v8
	global_store_dword v[6:7], v8, off
	v_and_or_b32 v2, v5, s6, v4
	v_cmp_ne_u32_e32 vcc, 0, v2
	v_cndmask_b32_e64 v2, 0, 1, vcc
	v_lshrrev_b32_e32 v3, 8, v5
	v_and_or_b32 v8, v3, s7, v2
	v_bfe_u32 v3, v5, 20, 11
	v_sub_u32_e32 v4, 0x3f1, v3
	v_or_b32_e32 v2, 0x1000, v8
	v_med3_i32 v4, v4, 0, 13
	v_lshrrev_b32_e32 v10, v4, v2
	v_lshlrev_b32_e32 v4, v4, v10
	v_cmp_ne_u32_e32 vcc, v4, v2
	v_mul_f16_sdwa v0, v104, v0 dst_sel:DWORD dst_unused:UNUSED_PAD src0_sel:WORD_1 src1_sel:DWORD
	v_cndmask_b32_e64 v2, 0, 1, vcc
	v_fma_f16 v0, v104, v9, -v0
	v_or_b32_e32 v2, v10, v2
	v_add_u32_e32 v10, 0xfffffc10, v3
	v_cvt_f32_f16_e32 v0, v0
	v_lshl_or_b32 v3, v10, 12, v8
	v_cmp_gt_i32_e32 vcc, 1, v10
	v_cndmask_b32_e32 v2, v3, v2, vcc
	v_and_b32_e32 v3, 7, v2
	v_cmp_lt_i32_e32 vcc, 5, v3
	v_cmp_eq_u32_e64 s[0:1], 3, v3
	v_lshrrev_b32_e32 v4, 2, v2
	v_cvt_f64_f32_e32 v[2:3], v0
	s_or_b64 vcc, s[0:1], vcc
	v_addc_co_u32_e32 v0, vcc, 0, v4, vcc
	v_mul_f64 v[3:4], v[2:3], s[2:3]
	v_cmp_gt_i32_e32 vcc, 31, v10
	v_cndmask_b32_e32 v0, v14, v0, vcc
	v_cmp_ne_u32_e32 vcc, 0, v8
	v_cndmask_b32_e64 v2, 0, 1, vcc
	v_lshl_or_b32 v2, v2, 9, v14
	v_cmp_eq_u32_e32 vcc, s10, v10
	v_cndmask_b32_e32 v0, v0, v2, vcc
	v_lshrrev_b32_e32 v2, 16, v5
	v_and_or_b32 v0, v2, s14, v0
	v_and_or_b32 v2, v4, s6, v3
	v_cmp_ne_u32_e32 vcc, 0, v2
	v_cndmask_b32_e64 v2, 0, 1, vcc
	v_lshrrev_b32_e32 v3, 8, v4
	v_and_or_b32 v5, v3, s7, v2
	v_bfe_u32 v3, v4, 20, 11
	v_sub_u32_e32 v8, 0x3f1, v3
	v_or_b32_e32 v2, 0x1000, v5
	v_med3_i32 v8, v8, 0, 13
	v_lshrrev_b32_e32 v9, v8, v2
	v_lshlrev_b32_e32 v8, v8, v9
	v_cmp_ne_u32_e32 vcc, v8, v2
	v_cndmask_b32_e64 v2, 0, 1, vcc
	v_add_u32_e32 v8, 0xfffffc10, v3
	v_or_b32_e32 v2, v9, v2
	v_lshl_or_b32 v3, v8, 12, v5
	v_cmp_gt_i32_e32 vcc, 1, v8
	v_cndmask_b32_e32 v2, v3, v2, vcc
	v_and_b32_e32 v3, 7, v2
	v_cmp_lt_i32_e32 vcc, 5, v3
	v_cmp_eq_u32_e64 s[0:1], 3, v3
	v_lshrrev_b32_e32 v2, 2, v2
	s_or_b64 vcc, s[0:1], vcc
	v_addc_co_u32_e32 v9, vcc, 0, v2, vcc
	ds_read2_b32 v[2:3], v111 offset0:24 offset1:220
	v_cmp_gt_i32_e32 vcc, 31, v8
	v_cndmask_b32_e32 v9, v14, v9, vcc
	v_cmp_ne_u32_e32 vcc, 0, v5
	v_cndmask_b32_e64 v5, 0, 1, vcc
	s_waitcnt lgkmcnt(0)
	v_lshrrev_b32_e32 v10, 16, v2
	v_mul_f16_sdwa v11, v103, v10 dst_sel:DWORD dst_unused:UNUSED_PAD src0_sel:WORD_1 src1_sel:DWORD
	v_fma_f16 v11, v103, v2, v11
	v_cvt_f32_f16_e32 v11, v11
	v_lshl_or_b32 v5, v5, 9, v14
	v_cmp_eq_u32_e32 vcc, s10, v8
	v_cndmask_b32_e32 v5, v9, v5, vcc
	v_cvt_f64_f32_e32 v[8:9], v11
	v_lshrrev_b32_e32 v4, 16, v4
	v_and_or_b32 v11, v4, s14, v5
	v_and_b32_e32 v0, 0xffff, v0
	v_mul_f64 v[4:5], v[8:9], s[2:3]
	v_mov_b32_e32 v8, s9
	v_add_co_u32_e32 v6, vcc, s8, v6
	v_lshl_or_b32 v0, v11, 16, v0
	v_addc_co_u32_e32 v7, vcc, v7, v8, vcc
	global_store_dword v[6:7], v0, off
	v_and_or_b32 v0, v5, s6, v4
	v_cmp_ne_u32_e32 vcc, 0, v0
	v_cndmask_b32_e64 v0, 0, 1, vcc
	v_lshrrev_b32_e32 v4, 8, v5
	v_bfe_u32 v8, v5, 20, 11
	v_and_or_b32 v0, v4, s7, v0
	v_sub_u32_e32 v9, 0x3f1, v8
	v_or_b32_e32 v4, 0x1000, v0
	v_med3_i32 v9, v9, 0, 13
	v_lshrrev_b32_e32 v11, v9, v4
	v_lshlrev_b32_e32 v9, v9, v11
	v_cmp_ne_u32_e32 vcc, v9, v4
	v_mul_f16_sdwa v2, v103, v2 dst_sel:DWORD dst_unused:UNUSED_PAD src0_sel:WORD_1 src1_sel:DWORD
	v_cndmask_b32_e64 v4, 0, 1, vcc
	v_fma_f16 v2, v103, v10, -v2
	v_or_b32_e32 v4, v11, v4
	v_add_u32_e32 v11, 0xfffffc10, v8
	v_cvt_f32_f16_e32 v2, v2
	v_lshl_or_b32 v8, v11, 12, v0
	v_cmp_gt_i32_e32 vcc, 1, v11
	v_cndmask_b32_e32 v4, v8, v4, vcc
	v_and_b32_e32 v8, 7, v4
	v_cmp_lt_i32_e32 vcc, 5, v8
	v_cmp_eq_u32_e64 s[0:1], 3, v8
	v_cvt_f64_f32_e32 v[8:9], v2
	v_lshrrev_b32_e32 v4, 2, v4
	s_or_b64 vcc, s[0:1], vcc
	v_addc_co_u32_e32 v2, vcc, 0, v4, vcc
	v_mul_f64 v[8:9], v[8:9], s[2:3]
	v_cmp_gt_i32_e32 vcc, 31, v11
	v_cndmask_b32_e32 v2, v14, v2, vcc
	v_cmp_ne_u32_e32 vcc, 0, v0
	v_cndmask_b32_e64 v0, 0, 1, vcc
	v_lshl_or_b32 v0, v0, 9, v14
	v_cmp_eq_u32_e32 vcc, s10, v11
	v_cndmask_b32_e32 v0, v2, v0, vcc
	v_lshrrev_b32_e32 v2, 16, v5
	v_and_or_b32 v0, v2, s14, v0
	v_and_or_b32 v2, v9, s6, v8
	v_cmp_ne_u32_e32 vcc, 0, v2
	v_cndmask_b32_e64 v2, 0, 1, vcc
	v_lshrrev_b32_e32 v4, 8, v9
	v_bfe_u32 v5, v9, 20, 11
	v_and_or_b32 v2, v4, s7, v2
	v_sub_u32_e32 v8, 0x3f1, v5
	v_or_b32_e32 v4, 0x1000, v2
	v_med3_i32 v8, v8, 0, 13
	v_lshrrev_b32_e32 v10, v8, v4
	v_lshlrev_b32_e32 v8, v8, v10
	v_cmp_ne_u32_e32 vcc, v8, v4
	v_cndmask_b32_e64 v4, 0, 1, vcc
	v_add_u32_e32 v8, 0xfffffc10, v5
	v_or_b32_e32 v4, v10, v4
	v_lshl_or_b32 v5, v8, 12, v2
	v_cmp_gt_i32_e32 vcc, 1, v8
	v_cndmask_b32_e32 v4, v5, v4, vcc
	v_and_b32_e32 v5, 7, v4
	v_cmp_lt_i32_e32 vcc, 5, v5
	v_cmp_eq_u32_e64 s[0:1], 3, v5
	v_lshrrev_b32_e32 v4, 2, v4
	s_or_b64 vcc, s[0:1], vcc
	v_addc_co_u32_e32 v10, vcc, 0, v4, vcc
	ds_read2_b32 v[4:5], v109 offset0:40 offset1:236
	v_cmp_gt_i32_e32 vcc, 31, v8
	v_cndmask_b32_e32 v10, v14, v10, vcc
	v_cmp_ne_u32_e32 vcc, 0, v2
	v_cndmask_b32_e64 v2, 0, 1, vcc
	s_waitcnt lgkmcnt(0)
	v_lshrrev_b32_e32 v12, 16, v4
	v_mul_f16_sdwa v11, v101, v12 dst_sel:DWORD dst_unused:UNUSED_PAD src0_sel:WORD_1 src1_sel:DWORD
	v_fma_f16 v11, v101, v4, v11
	v_cvt_f32_f16_e32 v11, v11
	v_lshl_or_b32 v2, v2, 9, v14
	v_cmp_eq_u32_e32 vcc, s10, v8
	v_cndmask_b32_e32 v2, v10, v2, vcc
	v_cvt_f64_f32_e32 v[10:11], v11
	v_lshrrev_b32_e32 v8, 16, v9
	v_and_or_b32 v2, v8, s14, v2
	v_and_b32_e32 v0, 0xffff, v0
	v_mul_f64 v[8:9], v[10:11], s[2:3]
	v_lshl_or_b32 v0, v2, 16, v0
	v_mov_b32_e32 v2, s4
	v_add_co_u32_e32 v10, vcc, s5, v6
	v_addc_co_u32_e32 v11, vcc, v7, v2, vcc
	global_store_dword v[10:11], v0, off
	v_and_or_b32 v0, v9, s6, v8
	v_cmp_ne_u32_e32 vcc, 0, v0
	v_cndmask_b32_e64 v0, 0, 1, vcc
	v_lshrrev_b32_e32 v2, 8, v9
	v_bfe_u32 v6, v9, 20, 11
	v_and_or_b32 v0, v2, s7, v0
	v_sub_u32_e32 v7, 0x3f1, v6
	v_or_b32_e32 v2, 0x1000, v0
	v_med3_i32 v7, v7, 0, 13
	v_lshrrev_b32_e32 v8, v7, v2
	v_lshlrev_b32_e32 v7, v7, v8
	v_mul_f16_sdwa v4, v101, v4 dst_sel:DWORD dst_unused:UNUSED_PAD src0_sel:WORD_1 src1_sel:DWORD
	v_cmp_ne_u32_e32 vcc, v7, v2
	v_fma_f16 v4, v101, v12, -v4
	v_cndmask_b32_e64 v2, 0, 1, vcc
	v_add_u32_e32 v13, 0xfffffc10, v6
	v_cvt_f32_f16_e32 v4, v4
	v_or_b32_e32 v2, v8, v2
	v_lshl_or_b32 v6, v13, 12, v0
	v_cmp_gt_i32_e32 vcc, 1, v13
	v_cndmask_b32_e32 v2, v6, v2, vcc
	v_and_b32_e32 v6, 7, v2
	v_cmp_lt_i32_e32 vcc, 5, v6
	v_cmp_eq_u32_e64 s[0:1], 3, v6
	v_cvt_f64_f32_e32 v[6:7], v4
	v_lshrrev_b32_e32 v2, 2, v2
	s_or_b64 vcc, s[0:1], vcc
	v_addc_co_u32_e32 v2, vcc, 0, v2, vcc
	v_mul_f64 v[7:8], v[6:7], s[2:3]
	v_cmp_gt_i32_e32 vcc, 31, v13
	v_cndmask_b32_e32 v2, v14, v2, vcc
	v_cmp_ne_u32_e32 vcc, 0, v0
	v_cndmask_b32_e64 v0, 0, 1, vcc
	v_lshl_or_b32 v0, v0, 9, v14
	v_cmp_eq_u32_e32 vcc, s10, v13
	v_cndmask_b32_e32 v0, v2, v0, vcc
	v_lshrrev_b32_e32 v2, 16, v9
	v_and_or_b32 v0, v2, s14, v0
	v_and_or_b32 v2, v8, s6, v7
	v_cmp_ne_u32_e32 vcc, 0, v2
	v_cndmask_b32_e64 v2, 0, 1, vcc
	v_lshrrev_b32_e32 v4, 8, v8
	v_bfe_u32 v6, v8, 20, 11
	v_and_or_b32 v2, v4, s7, v2
	v_sub_u32_e32 v7, 0x3f1, v6
	v_or_b32_e32 v4, 0x1000, v2
	v_med3_i32 v7, v7, 0, 13
	v_lshrrev_b32_e32 v9, v7, v4
	v_lshlrev_b32_e32 v7, v7, v9
	v_cmp_ne_u32_e32 vcc, v7, v4
	v_cndmask_b32_e64 v4, 0, 1, vcc
	v_or_b32_e32 v4, v9, v4
	v_add_u32_e32 v9, 0xfffffc10, v6
	v_lshl_or_b32 v6, v9, 12, v2
	v_cmp_gt_i32_e32 vcc, 1, v9
	v_cndmask_b32_e32 v4, v6, v4, vcc
	v_and_b32_e32 v6, 7, v4
	v_cmp_lt_i32_e32 vcc, 5, v6
	v_cmp_eq_u32_e64 s[0:1], 3, v6
	ds_read2_b32 v[6:7], v107 offset0:56 offset1:252
	v_lshrrev_b32_e32 v4, 2, v4
	s_or_b64 vcc, s[0:1], vcc
	v_addc_co_u32_e32 v4, vcc, 0, v4, vcc
	s_waitcnt lgkmcnt(0)
	v_lshrrev_b32_e32 v15, 16, v6
	v_mul_f16_sdwa v12, v100, v15 dst_sel:DWORD dst_unused:UNUSED_PAD src0_sel:WORD_1 src1_sel:DWORD
	v_fma_f16 v12, v100, v6, v12
	v_cvt_f32_f16_e32 v12, v12
	v_cmp_gt_i32_e32 vcc, 31, v9
	v_cndmask_b32_e32 v4, v14, v4, vcc
	v_cmp_ne_u32_e32 vcc, 0, v2
	v_cvt_f64_f32_e32 v[12:13], v12
	v_cndmask_b32_e64 v2, 0, 1, vcc
	v_lshl_or_b32 v2, v2, 9, v14
	v_cmp_eq_u32_e32 vcc, s10, v9
	v_cndmask_b32_e32 v2, v4, v2, vcc
	v_lshrrev_b32_e32 v4, 16, v8
	v_mul_f64 v[8:9], v[12:13], s[2:3]
	v_and_or_b32 v2, v4, s14, v2
	v_and_b32_e32 v0, 0xffff, v0
	v_lshl_or_b32 v0, v2, 16, v0
	v_mov_b32_e32 v2, s4
	v_add_co_u32_e32 v10, vcc, s5, v10
	v_addc_co_u32_e32 v11, vcc, v11, v2, vcc
	global_store_dword v[10:11], v0, off
	v_and_or_b32 v0, v9, s6, v8
	v_cmp_ne_u32_e32 vcc, 0, v0
	v_cndmask_b32_e64 v0, 0, 1, vcc
	v_lshrrev_b32_e32 v2, 8, v9
	v_bfe_u32 v4, v9, 20, 11
	v_and_or_b32 v0, v2, s7, v0
	v_sub_u32_e32 v8, 0x3f1, v4
	v_mul_f16_sdwa v6, v100, v6 dst_sel:DWORD dst_unused:UNUSED_PAD src0_sel:WORD_1 src1_sel:DWORD
	v_or_b32_e32 v2, 0x1000, v0
	v_med3_i32 v8, v8, 0, 13
	v_fma_f16 v6, v100, v15, -v6
	v_lshrrev_b32_e32 v12, v8, v2
	v_cvt_f32_f16_e32 v6, v6
	v_lshlrev_b32_e32 v8, v8, v12
	v_cmp_ne_u32_e32 vcc, v8, v2
	v_cndmask_b32_e64 v2, 0, 1, vcc
	v_or_b32_e32 v2, v12, v2
	v_add_u32_e32 v4, 0xfffffc10, v4
	v_cvt_f64_f32_e32 v[12:13], v6
	v_lshl_or_b32 v8, v4, 12, v0
	v_cmp_gt_i32_e32 vcc, 1, v4
	v_cndmask_b32_e32 v2, v8, v2, vcc
	v_and_b32_e32 v8, 7, v2
	v_cmp_lt_i32_e32 vcc, 5, v8
	v_cmp_eq_u32_e64 s[0:1], 3, v8
	v_mul_f64 v[12:13], v[12:13], s[2:3]
	v_lshrrev_b32_e32 v2, 2, v2
	s_or_b64 vcc, s[0:1], vcc
	v_addc_co_u32_e32 v2, vcc, 0, v2, vcc
	v_cmp_gt_i32_e32 vcc, 31, v4
	v_cndmask_b32_e32 v2, v14, v2, vcc
	v_cmp_ne_u32_e32 vcc, 0, v0
	v_cndmask_b32_e64 v0, 0, 1, vcc
	v_lshl_or_b32 v0, v0, 9, v14
	v_cmp_eq_u32_e32 vcc, s10, v4
	v_cndmask_b32_e32 v0, v2, v0, vcc
	v_lshrrev_b32_e32 v2, 16, v9
	v_and_or_b32 v0, v2, s14, v0
	v_and_or_b32 v2, v13, s6, v12
	v_cmp_ne_u32_e32 vcc, 0, v2
	v_cndmask_b32_e64 v2, 0, 1, vcc
	v_lshrrev_b32_e32 v4, 8, v13
	v_bfe_u32 v6, v13, 20, 11
	v_and_or_b32 v2, v4, s7, v2
	v_sub_u32_e32 v8, 0x3f1, v6
	v_or_b32_e32 v4, 0x1000, v2
	v_med3_i32 v8, v8, 0, 13
	v_lshrrev_b32_e32 v9, v8, v4
	v_lshlrev_b32_e32 v8, v8, v9
	v_cmp_ne_u32_e32 vcc, v8, v4
	v_cndmask_b32_e64 v4, 0, 1, vcc
	v_add_u32_e32 v6, 0xfffffc10, v6
	v_or_b32_e32 v4, v9, v4
	v_lshl_or_b32 v8, v6, 12, v2
	v_cmp_gt_i32_e32 vcc, 1, v6
	v_cndmask_b32_e32 v4, v8, v4, vcc
	v_and_b32_e32 v8, 7, v4
	v_cmp_lt_i32_e32 vcc, 5, v8
	v_cmp_eq_u32_e64 s[0:1], 3, v8
	ds_read2_b32 v[8:9], v106 offset0:8 offset1:204
	v_lshrrev_b32_e32 v4, 2, v4
	s_or_b64 vcc, s[0:1], vcc
	v_addc_co_u32_e32 v4, vcc, 0, v4, vcc
	s_waitcnt lgkmcnt(0)
	v_lshrrev_b32_e32 v17, 16, v8
	v_mul_f16_sdwa v12, v99, v17 dst_sel:DWORD dst_unused:UNUSED_PAD src0_sel:WORD_1 src1_sel:DWORD
	v_fma_f16 v12, v99, v8, v12
	v_cvt_f32_f16_e32 v12, v12
	v_cmp_gt_i32_e32 vcc, 31, v6
	v_cndmask_b32_e32 v4, v14, v4, vcc
	v_cmp_ne_u32_e32 vcc, 0, v2
	v_cvt_f64_f32_e32 v[15:16], v12
	v_cndmask_b32_e64 v2, 0, 1, vcc
	v_lshl_or_b32 v2, v2, 9, v14
	v_cmp_eq_u32_e32 vcc, s10, v6
	v_cndmask_b32_e32 v2, v4, v2, vcc
	v_lshrrev_b32_e32 v4, 16, v13
	v_mul_f64 v[12:13], v[15:16], s[2:3]
	v_and_or_b32 v2, v4, s14, v2
	v_and_b32_e32 v0, 0xffff, v0
	v_lshl_or_b32 v0, v2, 16, v0
	v_mov_b32_e32 v2, s4
	v_add_co_u32_e32 v15, vcc, s5, v10
	v_addc_co_u32_e32 v16, vcc, v11, v2, vcc
	global_store_dword v[15:16], v0, off
	v_and_or_b32 v0, v13, s6, v12
	v_cmp_ne_u32_e32 vcc, 0, v0
	v_cndmask_b32_e64 v0, 0, 1, vcc
	v_lshrrev_b32_e32 v2, 8, v13
	v_bfe_u32 v4, v13, 20, 11
	v_and_or_b32 v0, v2, s7, v0
	v_sub_u32_e32 v6, 0x3f1, v4
	v_mul_f16_sdwa v8, v99, v8 dst_sel:DWORD dst_unused:UNUSED_PAD src0_sel:WORD_1 src1_sel:DWORD
	v_or_b32_e32 v2, 0x1000, v0
	v_med3_i32 v6, v6, 0, 13
	v_fma_f16 v8, v99, v17, -v8
	v_lshrrev_b32_e32 v10, v6, v2
	v_cvt_f32_f16_e32 v8, v8
	v_lshlrev_b32_e32 v6, v6, v10
	v_cmp_ne_u32_e32 vcc, v6, v2
	v_cndmask_b32_e64 v2, 0, 1, vcc
	v_or_b32_e32 v2, v10, v2
	v_add_u32_e32 v4, 0xfffffc10, v4
	v_cvt_f64_f32_e32 v[10:11], v8
	v_lshl_or_b32 v6, v4, 12, v0
	v_cmp_gt_i32_e32 vcc, 1, v4
	v_cndmask_b32_e32 v2, v6, v2, vcc
	v_and_b32_e32 v6, 7, v2
	v_cmp_lt_i32_e32 vcc, 5, v6
	v_cmp_eq_u32_e64 s[0:1], 3, v6
	v_mul_f64 v[11:12], v[10:11], s[2:3]
	v_lshrrev_b32_e32 v2, 2, v2
	s_or_b64 vcc, s[0:1], vcc
	v_addc_co_u32_e32 v2, vcc, 0, v2, vcc
	v_cmp_gt_i32_e32 vcc, 31, v4
	v_cndmask_b32_e32 v2, v14, v2, vcc
	v_cmp_ne_u32_e32 vcc, 0, v0
	v_cndmask_b32_e64 v0, 0, 1, vcc
	v_lshl_or_b32 v0, v0, 9, v14
	v_cmp_eq_u32_e32 vcc, s10, v4
	v_cndmask_b32_e32 v0, v2, v0, vcc
	v_lshrrev_b32_e32 v2, 16, v13
	v_and_or_b32 v0, v2, s14, v0
	v_and_or_b32 v2, v12, s6, v11
	v_cmp_ne_u32_e32 vcc, 0, v2
	v_cndmask_b32_e64 v2, 0, 1, vcc
	v_lshrrev_b32_e32 v4, 8, v12
	v_bfe_u32 v6, v12, 20, 11
	v_and_or_b32 v2, v4, s7, v2
	v_sub_u32_e32 v8, 0x3f1, v6
	v_or_b32_e32 v4, 0x1000, v2
	v_med3_i32 v8, v8, 0, 13
	v_lshrrev_b32_e32 v10, v8, v4
	v_lshlrev_b32_e32 v8, v8, v10
	v_cmp_ne_u32_e32 vcc, v8, v4
	v_cndmask_b32_e64 v4, 0, 1, vcc
	v_or_b32_e32 v4, v10, v4
	ds_read2_b32 v[10:11], v105 offset0:24 offset1:220
	v_add_u32_e32 v6, 0xfffffc10, v6
	v_lshl_or_b32 v8, v6, 12, v2
	v_cmp_gt_i32_e32 vcc, 1, v6
	v_cndmask_b32_e32 v4, v8, v4, vcc
	v_and_b32_e32 v8, 7, v4
	v_cmp_lt_i32_e32 vcc, 5, v8
	v_cmp_eq_u32_e64 s[0:1], 3, v8
	s_waitcnt lgkmcnt(0)
	v_lshrrev_b32_e32 v8, 16, v10
	v_mul_f16_sdwa v13, v98, v8 dst_sel:DWORD dst_unused:UNUSED_PAD src0_sel:WORD_1 src1_sel:DWORD
	v_fma_f16 v13, v98, v10, v13
	v_cvt_f32_f16_e32 v13, v13
	v_lshrrev_b32_e32 v4, 2, v4
	s_or_b64 vcc, s[0:1], vcc
	v_addc_co_u32_e32 v4, vcc, 0, v4, vcc
	v_cmp_gt_i32_e32 vcc, 31, v6
	v_cvt_f64_f32_e32 v[17:18], v13
	v_cndmask_b32_e32 v4, v14, v4, vcc
	v_cmp_ne_u32_e32 vcc, 0, v2
	v_cndmask_b32_e64 v2, 0, 1, vcc
	v_lshl_or_b32 v2, v2, 9, v14
	v_cmp_eq_u32_e32 vcc, s10, v6
	v_cndmask_b32_e32 v2, v4, v2, vcc
	v_lshrrev_b32_e32 v4, 16, v12
	v_mul_f64 v[12:13], v[17:18], s[2:3]
	v_and_or_b32 v2, v4, s14, v2
	v_and_b32_e32 v0, 0xffff, v0
	v_lshl_or_b32 v0, v2, 16, v0
	v_mov_b32_e32 v2, s4
	v_add_co_u32_e32 v15, vcc, s5, v15
	v_addc_co_u32_e32 v16, vcc, v16, v2, vcc
	global_store_dword v[15:16], v0, off
	v_and_or_b32 v0, v13, s6, v12
	v_cmp_ne_u32_e32 vcc, 0, v0
	v_cndmask_b32_e64 v0, 0, 1, vcc
	v_lshrrev_b32_e32 v2, 8, v13
	v_bfe_u32 v4, v13, 20, 11
	v_mul_f16_sdwa v10, v98, v10 dst_sel:DWORD dst_unused:UNUSED_PAD src0_sel:WORD_1 src1_sel:DWORD
	v_and_or_b32 v0, v2, s7, v0
	v_sub_u32_e32 v6, 0x3f1, v4
	v_fma_f16 v8, v98, v8, -v10
	v_or_b32_e32 v2, 0x1000, v0
	v_med3_i32 v6, v6, 0, 13
	v_cvt_f32_f16_e32 v8, v8
	v_lshrrev_b32_e32 v12, v6, v2
	v_lshlrev_b32_e32 v6, v6, v12
	v_cmp_ne_u32_e32 vcc, v6, v2
	v_cndmask_b32_e64 v2, 0, 1, vcc
	v_add_u32_e32 v4, 0xfffffc10, v4
	v_cvt_f64_f32_e32 v[17:18], v8
	v_or_b32_e32 v2, v12, v2
	v_lshl_or_b32 v6, v4, 12, v0
	v_cmp_gt_i32_e32 vcc, 1, v4
	v_cndmask_b32_e32 v2, v6, v2, vcc
	v_and_b32_e32 v6, 7, v2
	v_cmp_lt_i32_e32 vcc, 5, v6
	v_cmp_eq_u32_e64 s[0:1], 3, v6
	v_mul_f64 v[17:18], v[17:18], s[2:3]
	v_lshrrev_b32_e32 v2, 2, v2
	s_or_b64 vcc, s[0:1], vcc
	v_addc_co_u32_e32 v2, vcc, 0, v2, vcc
	v_cmp_gt_i32_e32 vcc, 31, v4
	v_cndmask_b32_e32 v2, v14, v2, vcc
	v_cmp_ne_u32_e32 vcc, 0, v0
	v_cndmask_b32_e64 v0, 0, 1, vcc
	v_lshl_or_b32 v0, v0, 9, v14
	v_cmp_eq_u32_e32 vcc, s10, v4
	v_cndmask_b32_e32 v0, v2, v0, vcc
	v_lshrrev_b32_e32 v2, 16, v13
	v_and_or_b32 v0, v2, s14, v0
	v_and_or_b32 v2, v18, s6, v17
	v_cmp_ne_u32_e32 vcc, 0, v2
	v_cndmask_b32_e64 v2, 0, 1, vcc
	v_lshrrev_b32_e32 v4, 8, v18
	v_bfe_u32 v6, v18, 20, 11
	v_and_or_b32 v2, v4, s7, v2
	v_sub_u32_e32 v8, 0x3f1, v6
	v_or_b32_e32 v4, 0x1000, v2
	v_med3_i32 v8, v8, 0, 13
	v_lshrrev_b32_e32 v10, v8, v4
	v_lshlrev_b32_e32 v8, v8, v10
	v_cmp_ne_u32_e32 vcc, v8, v4
	ds_read2_b32 v[12:13], v102 offset0:40 offset1:236
	v_cndmask_b32_e64 v4, 0, 1, vcc
	v_add_u32_e32 v6, 0xfffffc10, v6
	v_or_b32_e32 v4, v10, v4
	v_lshl_or_b32 v8, v6, 12, v2
	v_cmp_gt_i32_e32 vcc, 1, v6
	v_cndmask_b32_e32 v4, v8, v4, vcc
	v_and_b32_e32 v8, 7, v4
	v_cmp_lt_i32_e32 vcc, 5, v8
	v_cmp_eq_u32_e64 s[0:1], 3, v8
	s_waitcnt lgkmcnt(0)
	v_lshrrev_b32_e32 v8, 16, v12
	v_mul_f16_sdwa v10, v97, v8 dst_sel:DWORD dst_unused:UNUSED_PAD src0_sel:WORD_1 src1_sel:DWORD
	v_fma_f16 v10, v97, v12, v10
	v_cvt_f32_f16_e32 v10, v10
	v_lshrrev_b32_e32 v4, 2, v4
	s_or_b64 vcc, s[0:1], vcc
	v_addc_co_u32_e32 v4, vcc, 0, v4, vcc
	v_cmp_gt_i32_e32 vcc, 31, v6
	v_cvt_f64_f32_e32 v[19:20], v10
	v_cndmask_b32_e32 v4, v14, v4, vcc
	v_cmp_ne_u32_e32 vcc, 0, v2
	v_cndmask_b32_e64 v2, 0, 1, vcc
	v_lshl_or_b32 v2, v2, 9, v14
	v_cmp_eq_u32_e32 vcc, s10, v6
	v_cndmask_b32_e32 v2, v4, v2, vcc
	v_lshrrev_b32_e32 v4, 16, v18
	v_mul_f64 v[17:18], v[19:20], s[2:3]
	v_and_or_b32 v2, v4, s14, v2
	v_and_b32_e32 v0, 0xffff, v0
	v_lshl_or_b32 v0, v2, 16, v0
	v_mov_b32_e32 v2, s4
	v_add_co_u32_e32 v15, vcc, s5, v15
	v_addc_co_u32_e32 v16, vcc, v16, v2, vcc
	global_store_dword v[15:16], v0, off
	v_and_or_b32 v0, v18, s6, v17
	v_cmp_ne_u32_e32 vcc, 0, v0
	v_cndmask_b32_e64 v0, 0, 1, vcc
	v_lshrrev_b32_e32 v2, 8, v18
	v_bfe_u32 v4, v18, 20, 11
	v_and_or_b32 v0, v2, s7, v0
	v_sub_u32_e32 v6, 0x3f1, v4
	v_or_b32_e32 v2, 0x1000, v0
	v_med3_i32 v6, v6, 0, 13
	v_lshrrev_b32_e32 v10, v6, v2
	v_lshlrev_b32_e32 v6, v6, v10
	v_cmp_ne_u32_e32 vcc, v6, v2
	v_cndmask_b32_e64 v2, 0, 1, vcc
	v_or_b32_e32 v2, v10, v2
	v_mul_f16_sdwa v10, v97, v12 dst_sel:DWORD dst_unused:UNUSED_PAD src0_sel:WORD_1 src1_sel:DWORD
	v_fma_f16 v8, v97, v8, -v10
	v_cvt_f32_f16_e32 v8, v8
	v_add_u32_e32 v4, 0xfffffc10, v4
	v_lshl_or_b32 v6, v4, 12, v0
	v_cmp_gt_i32_e32 vcc, 1, v4
	v_cvt_f64_f32_e32 v[19:20], v8
	v_cndmask_b32_e32 v2, v6, v2, vcc
	v_and_b32_e32 v6, 7, v2
	v_cmp_lt_i32_e32 vcc, 5, v6
	v_cmp_eq_u32_e64 s[0:1], 3, v6
	v_mul_f64 v[19:20], v[19:20], s[2:3]
	v_lshrrev_b32_e32 v2, 2, v2
	s_or_b64 vcc, s[0:1], vcc
	v_addc_co_u32_e32 v2, vcc, 0, v2, vcc
	v_cmp_gt_i32_e32 vcc, 31, v4
	v_cndmask_b32_e32 v2, v14, v2, vcc
	v_cmp_ne_u32_e32 vcc, 0, v0
	v_cndmask_b32_e64 v0, 0, 1, vcc
	v_lshl_or_b32 v0, v0, 9, v14
	v_cmp_eq_u32_e32 vcc, s10, v4
	v_cndmask_b32_e32 v0, v2, v0, vcc
	v_lshrrev_b32_e32 v2, 16, v18
	v_and_or_b32 v0, v2, s14, v0
	v_and_or_b32 v2, v20, s6, v19
	v_cmp_ne_u32_e32 vcc, 0, v2
	v_cndmask_b32_e64 v2, 0, 1, vcc
	v_lshrrev_b32_e32 v4, 8, v20
	v_bfe_u32 v6, v20, 20, 11
	v_and_or_b32 v2, v4, s7, v2
	v_sub_u32_e32 v8, 0x3f1, v6
	v_or_b32_e32 v4, 0x1000, v2
	v_med3_i32 v8, v8, 0, 13
	v_lshrrev_b32_e32 v10, v8, v4
	v_lshlrev_b32_e32 v8, v8, v10
	v_cmp_ne_u32_e32 vcc, v8, v4
	v_cndmask_b32_e64 v4, 0, 1, vcc
	v_add_u32_e32 v6, 0xfffffc10, v6
	v_or_b32_e32 v4, v10, v4
	v_lshl_or_b32 v8, v6, 12, v2
	v_cmp_gt_i32_e32 vcc, 1, v6
	v_cndmask_b32_e32 v4, v8, v4, vcc
	v_and_b32_e32 v8, 7, v4
	v_cmp_lt_i32_e32 vcc, 5, v8
	v_cmp_eq_u32_e64 s[0:1], 3, v8
	v_lshrrev_b32_e32 v8, 16, v1
	v_mul_f16_sdwa v10, v96, v8 dst_sel:DWORD dst_unused:UNUSED_PAD src0_sel:WORD_1 src1_sel:DWORD
	v_fma_f16 v10, v96, v1, v10
	v_cvt_f32_f16_e32 v10, v10
	v_lshrrev_b32_e32 v4, 2, v4
	s_or_b64 vcc, s[0:1], vcc
	v_addc_co_u32_e32 v4, vcc, 0, v4, vcc
	v_cvt_f64_f32_e32 v[17:18], v10
	v_cmp_gt_i32_e32 vcc, 31, v6
	v_cndmask_b32_e32 v4, v14, v4, vcc
	v_cmp_ne_u32_e32 vcc, 0, v2
	v_mul_f64 v[17:18], v[17:18], s[2:3]
	v_cndmask_b32_e64 v2, 0, 1, vcc
	v_lshl_or_b32 v2, v2, 9, v14
	v_cmp_eq_u32_e32 vcc, s10, v6
	v_cndmask_b32_e32 v2, v4, v2, vcc
	v_lshrrev_b32_e32 v4, 16, v20
	v_and_or_b32 v2, v4, s14, v2
	v_and_b32_e32 v0, 0xffff, v0
	v_lshl_or_b32 v0, v2, 16, v0
	v_mov_b32_e32 v2, s4
	v_add_co_u32_e32 v15, vcc, s5, v15
	v_addc_co_u32_e32 v16, vcc, v16, v2, vcc
	global_store_dword v[15:16], v0, off
	v_and_or_b32 v0, v18, s6, v17
	v_cmp_ne_u32_e32 vcc, 0, v0
	v_cndmask_b32_e64 v0, 0, 1, vcc
	v_lshrrev_b32_e32 v2, 8, v18
	v_bfe_u32 v4, v18, 20, 11
	v_and_or_b32 v2, v2, s7, v0
	v_sub_u32_e32 v6, 0x3f1, v4
	v_or_b32_e32 v0, 0x1000, v2
	v_med3_i32 v6, v6, 0, 13
	v_lshrrev_b32_e32 v10, v6, v0
	v_lshlrev_b32_e32 v6, v6, v10
	v_mul_f16_sdwa v1, v96, v1 dst_sel:DWORD dst_unused:UNUSED_PAD src0_sel:WORD_1 src1_sel:DWORD
	v_cmp_ne_u32_e32 vcc, v6, v0
	v_fma_f16 v1, v96, v8, -v1
	v_cndmask_b32_e64 v0, 0, 1, vcc
	v_add_u32_e32 v4, 0xfffffc10, v4
	v_cvt_f32_f16_e32 v1, v1
	v_or_b32_e32 v0, v10, v0
	v_lshl_or_b32 v6, v4, 12, v2
	v_cmp_gt_i32_e32 vcc, 1, v4
	v_cndmask_b32_e32 v0, v6, v0, vcc
	v_and_b32_e32 v6, 7, v0
	v_cmp_lt_i32_e32 vcc, 5, v6
	v_cmp_eq_u32_e64 s[0:1], 3, v6
	v_lshrrev_b32_e32 v6, 2, v0
	v_cvt_f64_f32_e32 v[0:1], v1
	s_or_b64 vcc, s[0:1], vcc
	v_addc_co_u32_e32 v6, vcc, 0, v6, vcc
	v_mul_f64 v[0:1], v[0:1], s[2:3]
	v_cmp_gt_i32_e32 vcc, 31, v4
	v_cndmask_b32_e32 v6, v14, v6, vcc
	v_cmp_ne_u32_e32 vcc, 0, v2
	v_cndmask_b32_e64 v2, 0, 1, vcc
	v_lshl_or_b32 v2, v2, 9, v14
	v_cmp_eq_u32_e32 vcc, s10, v4
	v_cndmask_b32_e32 v2, v6, v2, vcc
	v_and_or_b32 v0, v1, s6, v0
	v_lshrrev_b32_e32 v4, 16, v18
	v_cmp_ne_u32_e32 vcc, 0, v0
	v_and_or_b32 v2, v4, s14, v2
	v_cndmask_b32_e64 v0, 0, 1, vcc
	v_lshrrev_b32_e32 v4, 8, v1
	v_bfe_u32 v6, v1, 20, 11
	v_and_or_b32 v0, v4, s7, v0
	v_sub_u32_e32 v8, 0x3f1, v6
	v_or_b32_e32 v4, 0x1000, v0
	v_med3_i32 v8, v8, 0, 13
	v_lshrrev_b32_e32 v10, v8, v4
	v_lshlrev_b32_e32 v8, v8, v10
	v_cmp_ne_u32_e32 vcc, v8, v4
	v_cndmask_b32_e64 v4, 0, 1, vcc
	v_add_u32_e32 v6, 0xfffffc10, v6
	v_or_b32_e32 v4, v10, v4
	v_lshl_or_b32 v8, v6, 12, v0
	v_cmp_gt_i32_e32 vcc, 1, v6
	v_cndmask_b32_e32 v4, v8, v4, vcc
	v_and_b32_e32 v8, 7, v4
	v_cmp_lt_i32_e32 vcc, 5, v8
	v_cmp_eq_u32_e64 s[0:1], 3, v8
	v_lshrrev_b32_e32 v8, 16, v3
	v_mul_f16_sdwa v10, v95, v8 dst_sel:DWORD dst_unused:UNUSED_PAD src0_sel:WORD_1 src1_sel:DWORD
	v_fma_f16 v10, v95, v3, v10
	v_cvt_f32_f16_e32 v10, v10
	v_lshrrev_b32_e32 v4, 2, v4
	s_or_b64 vcc, s[0:1], vcc
	v_addc_co_u32_e32 v4, vcc, 0, v4, vcc
	v_cmp_gt_i32_e32 vcc, 31, v6
	v_cndmask_b32_e32 v4, v14, v4, vcc
	v_cmp_ne_u32_e32 vcc, 0, v0
	v_cvt_f64_f32_e32 v[17:18], v10
	v_cndmask_b32_e64 v0, 0, 1, vcc
	v_lshl_or_b32 v0, v0, 9, v14
	v_cmp_eq_u32_e32 vcc, s10, v6
	v_cndmask_b32_e32 v0, v4, v0, vcc
	v_lshrrev_b32_e32 v1, 16, v1
	v_and_or_b32 v4, v1, s14, v0
	v_mul_f64 v[0:1], v[17:18], s[2:3]
	v_and_b32_e32 v2, 0xffff, v2
	v_lshl_or_b32 v2, v4, 16, v2
	v_mov_b32_e32 v4, s9
	v_add_co_u32_e32 v15, vcc, s8, v15
	v_addc_co_u32_e32 v16, vcc, v16, v4, vcc
	v_and_or_b32 v0, v1, s6, v0
	v_cmp_ne_u32_e32 vcc, 0, v0
	global_store_dword v[15:16], v2, off
	v_cndmask_b32_e64 v0, 0, 1, vcc
	v_lshrrev_b32_e32 v2, 8, v1
	v_bfe_u32 v4, v1, 20, 11
	v_and_or_b32 v0, v2, s7, v0
	v_sub_u32_e32 v6, 0x3f1, v4
	v_or_b32_e32 v2, 0x1000, v0
	v_med3_i32 v6, v6, 0, 13
	v_lshrrev_b32_e32 v10, v6, v2
	v_lshlrev_b32_e32 v6, v6, v10
	v_mul_f16_sdwa v3, v95, v3 dst_sel:DWORD dst_unused:UNUSED_PAD src0_sel:WORD_1 src1_sel:DWORD
	v_cmp_ne_u32_e32 vcc, v6, v2
	v_fma_f16 v3, v95, v8, -v3
	v_cndmask_b32_e64 v2, 0, 1, vcc
	v_add_u32_e32 v4, 0xfffffc10, v4
	v_cvt_f32_f16_e32 v3, v3
	v_or_b32_e32 v2, v10, v2
	v_lshl_or_b32 v6, v4, 12, v0
	v_cmp_gt_i32_e32 vcc, 1, v4
	v_cndmask_b32_e32 v2, v6, v2, vcc
	v_and_b32_e32 v6, 7, v2
	v_cmp_lt_i32_e32 vcc, 5, v6
	v_cmp_eq_u32_e64 s[0:1], 3, v6
	v_lshrrev_b32_e32 v6, 2, v2
	v_cvt_f64_f32_e32 v[2:3], v3
	s_or_b64 vcc, s[0:1], vcc
	v_addc_co_u32_e32 v6, vcc, 0, v6, vcc
	v_mul_f64 v[2:3], v[2:3], s[2:3]
	v_cmp_gt_i32_e32 vcc, 31, v4
	v_cndmask_b32_e32 v6, v14, v6, vcc
	v_cmp_ne_u32_e32 vcc, 0, v0
	v_cndmask_b32_e64 v0, 0, 1, vcc
	v_lshl_or_b32 v0, v0, 9, v14
	v_cmp_eq_u32_e32 vcc, s10, v4
	v_cndmask_b32_e32 v0, v6, v0, vcc
	v_lshrrev_b32_e32 v1, 16, v1
	v_and_or_b32 v4, v1, s14, v0
	v_and_or_b32 v0, v3, s6, v2
	v_cmp_ne_u32_e32 vcc, 0, v0
	v_cndmask_b32_e64 v0, 0, 1, vcc
	v_lshrrev_b32_e32 v1, 8, v3
	v_bfe_u32 v2, v3, 20, 11
	v_and_or_b32 v0, v1, s7, v0
	v_sub_u32_e32 v6, 0x3f1, v2
	v_or_b32_e32 v1, 0x1000, v0
	v_med3_i32 v6, v6, 0, 13
	v_lshrrev_b32_e32 v8, v6, v1
	v_lshlrev_b32_e32 v6, v6, v8
	v_cmp_ne_u32_e32 vcc, v6, v1
	v_cndmask_b32_e64 v1, 0, 1, vcc
	v_add_u32_e32 v2, 0xfffffc10, v2
	v_or_b32_e32 v1, v8, v1
	v_lshl_or_b32 v6, v2, 12, v0
	v_cmp_gt_i32_e32 vcc, 1, v2
	v_cndmask_b32_e32 v1, v6, v1, vcc
	v_and_b32_e32 v6, 7, v1
	v_cmp_lt_i32_e32 vcc, 5, v6
	v_cmp_eq_u32_e64 s[0:1], 3, v6
	v_lshrrev_b32_e32 v6, 16, v5
	v_lshrrev_b32_e32 v1, 2, v1
	s_or_b64 vcc, s[0:1], vcc
	v_mul_f16_sdwa v8, v94, v6 dst_sel:DWORD dst_unused:UNUSED_PAD src0_sel:WORD_1 src1_sel:DWORD
	v_addc_co_u32_e32 v1, vcc, 0, v1, vcc
	v_fma_f16 v8, v94, v5, v8
	v_cmp_gt_i32_e32 vcc, 31, v2
	v_cvt_f32_f16_e32 v8, v8
	v_cndmask_b32_e32 v1, v14, v1, vcc
	v_cmp_ne_u32_e32 vcc, 0, v0
	v_cndmask_b32_e64 v0, 0, 1, vcc
	v_lshl_or_b32 v0, v0, 9, v14
	v_cmp_eq_u32_e32 vcc, s10, v2
	v_cndmask_b32_e32 v2, v1, v0, vcc
	v_cvt_f64_f32_e32 v[0:1], v8
	v_lshrrev_b32_e32 v3, 16, v3
	v_and_or_b32 v2, v3, s14, v2
	v_and_b32_e32 v3, 0xffff, v4
	v_mul_f64 v[0:1], v[0:1], s[2:3]
	v_lshl_or_b32 v4, v2, 16, v3
	v_mov_b32_e32 v3, s4
	v_add_co_u32_e32 v2, vcc, s5, v15
	v_addc_co_u32_e32 v3, vcc, v16, v3, vcc
	global_store_dword v[2:3], v4, off
	v_and_or_b32 v0, v1, s6, v0
	v_cmp_ne_u32_e32 vcc, 0, v0
	v_cndmask_b32_e64 v0, 0, 1, vcc
	v_lshrrev_b32_e32 v4, 8, v1
	v_bfe_u32 v8, v1, 20, 11
	v_and_or_b32 v0, v4, s7, v0
	v_sub_u32_e32 v10, 0x3f1, v8
	v_or_b32_e32 v4, 0x1000, v0
	v_med3_i32 v10, v10, 0, 13
	v_lshrrev_b32_e32 v12, v10, v4
	v_mul_f16_sdwa v5, v94, v5 dst_sel:DWORD dst_unused:UNUSED_PAD src0_sel:WORD_1 src1_sel:DWORD
	v_lshlrev_b32_e32 v10, v10, v12
	v_fma_f16 v5, v94, v6, -v5
	v_cmp_ne_u32_e32 vcc, v10, v4
	v_cvt_f32_f16_e32 v5, v5
	v_cndmask_b32_e64 v4, 0, 1, vcc
	v_add_u32_e32 v8, 0xfffffc10, v8
	v_or_b32_e32 v4, v12, v4
	v_lshl_or_b32 v10, v8, 12, v0
	v_cmp_gt_i32_e32 vcc, 1, v8
	v_cndmask_b32_e32 v4, v10, v4, vcc
	v_and_b32_e32 v10, 7, v4
	v_lshrrev_b32_e32 v6, 2, v4
	v_cvt_f64_f32_e32 v[4:5], v5
	v_cmp_lt_i32_e32 vcc, 5, v10
	v_cmp_eq_u32_e64 s[0:1], 3, v10
	s_or_b64 vcc, s[0:1], vcc
	v_mul_f64 v[4:5], v[4:5], s[2:3]
	v_addc_co_u32_e32 v6, vcc, 0, v6, vcc
	v_cmp_gt_i32_e32 vcc, 31, v8
	v_cndmask_b32_e32 v6, v14, v6, vcc
	v_cmp_ne_u32_e32 vcc, 0, v0
	v_cndmask_b32_e64 v0, 0, 1, vcc
	v_lshl_or_b32 v0, v0, 9, v14
	v_cmp_eq_u32_e32 vcc, s10, v8
	v_cndmask_b32_e32 v0, v6, v0, vcc
	v_lshrrev_b32_e32 v1, 16, v1
	v_and_or_b32 v6, v1, s14, v0
	v_and_or_b32 v0, v5, s6, v4
	v_cmp_ne_u32_e32 vcc, 0, v0
	v_cndmask_b32_e64 v0, 0, 1, vcc
	v_lshrrev_b32_e32 v1, 8, v5
	v_bfe_u32 v4, v5, 20, 11
	v_and_or_b32 v0, v1, s7, v0
	v_sub_u32_e32 v8, 0x3f1, v4
	v_or_b32_e32 v1, 0x1000, v0
	v_med3_i32 v8, v8, 0, 13
	v_lshrrev_b32_e32 v10, v8, v1
	v_lshlrev_b32_e32 v8, v8, v10
	v_cmp_ne_u32_e32 vcc, v8, v1
	v_cndmask_b32_e64 v1, 0, 1, vcc
	v_add_u32_e32 v4, 0xfffffc10, v4
	v_or_b32_e32 v1, v10, v1
	v_lshl_or_b32 v8, v4, 12, v0
	v_cmp_gt_i32_e32 vcc, 1, v4
	v_cndmask_b32_e32 v1, v8, v1, vcc
	v_and_b32_e32 v8, 7, v1
	v_cmp_lt_i32_e32 vcc, 5, v8
	v_cmp_eq_u32_e64 s[0:1], 3, v8
	v_lshrrev_b32_e32 v8, 16, v7
	v_lshrrev_b32_e32 v1, 2, v1
	s_or_b64 vcc, s[0:1], vcc
	v_mul_f16_sdwa v10, v93, v8 dst_sel:DWORD dst_unused:UNUSED_PAD src0_sel:WORD_1 src1_sel:DWORD
	v_addc_co_u32_e32 v1, vcc, 0, v1, vcc
	v_fma_f16 v10, v93, v7, v10
	v_cmp_gt_i32_e32 vcc, 31, v4
	v_cvt_f32_f16_e32 v10, v10
	v_cndmask_b32_e32 v1, v14, v1, vcc
	v_cmp_ne_u32_e32 vcc, 0, v0
	v_cndmask_b32_e64 v0, 0, 1, vcc
	v_lshl_or_b32 v0, v0, 9, v14
	v_cmp_eq_u32_e32 vcc, s10, v4
	v_cndmask_b32_e32 v4, v1, v0, vcc
	v_cvt_f64_f32_e32 v[0:1], v10
	v_lshrrev_b32_e32 v5, 16, v5
	v_and_or_b32 v4, v5, s14, v4
	v_and_b32_e32 v5, 0xffff, v6
	v_mul_f64 v[0:1], v[0:1], s[2:3]
	v_lshl_or_b32 v4, v4, 16, v5
	v_mov_b32_e32 v5, s4
	v_add_co_u32_e32 v2, vcc, s5, v2
	v_addc_co_u32_e32 v3, vcc, v3, v5, vcc
	global_store_dword v[2:3], v4, off
	v_and_or_b32 v0, v1, s6, v0
	v_cmp_ne_u32_e32 vcc, 0, v0
	v_cndmask_b32_e64 v0, 0, 1, vcc
	v_lshrrev_b32_e32 v4, 8, v1
	v_bfe_u32 v5, v1, 20, 11
	v_and_or_b32 v0, v4, s7, v0
	v_sub_u32_e32 v6, 0x3f1, v5
	v_or_b32_e32 v4, 0x1000, v0
	v_med3_i32 v6, v6, 0, 13
	v_lshrrev_b32_e32 v10, v6, v4
	v_lshlrev_b32_e32 v6, v6, v10
	v_mul_f16_sdwa v7, v93, v7 dst_sel:DWORD dst_unused:UNUSED_PAD src0_sel:WORD_1 src1_sel:DWORD
	v_cmp_ne_u32_e32 vcc, v6, v4
	v_fma_f16 v7, v93, v8, -v7
	v_cndmask_b32_e64 v4, 0, 1, vcc
	v_add_u32_e32 v6, 0xfffffc10, v5
	v_cvt_f32_f16_e32 v7, v7
	v_or_b32_e32 v4, v10, v4
	v_lshl_or_b32 v5, v6, 12, v0
	v_cmp_gt_i32_e32 vcc, 1, v6
	v_cndmask_b32_e32 v4, v5, v4, vcc
	v_and_b32_e32 v5, 7, v4
	v_cmp_lt_i32_e32 vcc, 5, v5
	v_cmp_eq_u32_e64 s[0:1], 3, v5
	v_lshrrev_b32_e32 v8, 2, v4
	v_cvt_f64_f32_e32 v[4:5], v7
	s_or_b64 vcc, s[0:1], vcc
	v_addc_co_u32_e32 v7, vcc, 0, v8, vcc
	v_mul_f64 v[4:5], v[4:5], s[2:3]
	v_cmp_gt_i32_e32 vcc, 31, v6
	v_cndmask_b32_e32 v7, v14, v7, vcc
	v_cmp_ne_u32_e32 vcc, 0, v0
	v_cndmask_b32_e64 v0, 0, 1, vcc
	v_lshl_or_b32 v0, v0, 9, v14
	v_cmp_eq_u32_e32 vcc, s10, v6
	v_cndmask_b32_e32 v0, v7, v0, vcc
	v_lshrrev_b32_e32 v1, 16, v1
	v_and_or_b32 v6, v1, s14, v0
	v_and_or_b32 v0, v5, s6, v4
	v_cmp_ne_u32_e32 vcc, 0, v0
	v_cndmask_b32_e64 v0, 0, 1, vcc
	v_lshrrev_b32_e32 v1, 8, v5
	v_bfe_u32 v4, v5, 20, 11
	v_and_or_b32 v0, v1, s7, v0
	v_sub_u32_e32 v7, 0x3f1, v4
	v_or_b32_e32 v1, 0x1000, v0
	v_med3_i32 v7, v7, 0, 13
	v_lshrrev_b32_e32 v8, v7, v1
	v_lshlrev_b32_e32 v7, v7, v8
	v_cmp_ne_u32_e32 vcc, v7, v1
	v_cndmask_b32_e64 v1, 0, 1, vcc
	v_add_u32_e32 v4, 0xfffffc10, v4
	v_or_b32_e32 v1, v8, v1
	v_lshl_or_b32 v7, v4, 12, v0
	v_cmp_gt_i32_e32 vcc, 1, v4
	v_cndmask_b32_e32 v1, v7, v1, vcc
	v_and_b32_e32 v7, 7, v1
	v_cmp_lt_i32_e32 vcc, 5, v7
	v_cmp_eq_u32_e64 s[0:1], 3, v7
	v_lshrrev_b32_e32 v7, 16, v9
	v_lshrrev_b32_e32 v1, 2, v1
	s_or_b64 vcc, s[0:1], vcc
	v_mul_f16_sdwa v8, v91, v7 dst_sel:DWORD dst_unused:UNUSED_PAD src0_sel:WORD_1 src1_sel:DWORD
	v_addc_co_u32_e32 v1, vcc, 0, v1, vcc
	v_fma_f16 v8, v91, v9, v8
	v_cmp_gt_i32_e32 vcc, 31, v4
	v_cvt_f32_f16_e32 v8, v8
	v_cndmask_b32_e32 v1, v14, v1, vcc
	v_cmp_ne_u32_e32 vcc, 0, v0
	v_cndmask_b32_e64 v0, 0, 1, vcc
	v_lshl_or_b32 v0, v0, 9, v14
	v_cmp_eq_u32_e32 vcc, s10, v4
	v_cndmask_b32_e32 v4, v1, v0, vcc
	v_cvt_f64_f32_e32 v[0:1], v8
	v_lshrrev_b32_e32 v5, 16, v5
	v_and_or_b32 v4, v5, s14, v4
	v_and_b32_e32 v5, 0xffff, v6
	v_mul_f64 v[0:1], v[0:1], s[2:3]
	v_lshl_or_b32 v4, v4, 16, v5
	v_mov_b32_e32 v5, s4
	v_add_co_u32_e32 v2, vcc, s5, v2
	v_addc_co_u32_e32 v3, vcc, v3, v5, vcc
	global_store_dword v[2:3], v4, off
	v_and_or_b32 v0, v1, s6, v0
	v_cmp_ne_u32_e32 vcc, 0, v0
	v_cndmask_b32_e64 v0, 0, 1, vcc
	v_lshrrev_b32_e32 v4, 8, v1
	v_bfe_u32 v5, v1, 20, 11
	v_and_or_b32 v0, v4, s7, v0
	v_sub_u32_e32 v6, 0x3f1, v5
	v_or_b32_e32 v4, 0x1000, v0
	v_med3_i32 v6, v6, 0, 13
	v_lshrrev_b32_e32 v8, v6, v4
	v_lshlrev_b32_e32 v6, v6, v8
	v_cmp_ne_u32_e32 vcc, v6, v4
	v_cndmask_b32_e64 v4, 0, 1, vcc
	v_or_b32_e32 v4, v8, v4
	v_mul_f16_sdwa v8, v91, v9 dst_sel:DWORD dst_unused:UNUSED_PAD src0_sel:WORD_1 src1_sel:DWORD
	v_fma_f16 v7, v91, v7, -v8
	v_add_u32_e32 v6, 0xfffffc10, v5
	v_cvt_f32_f16_e32 v7, v7
	v_lshl_or_b32 v5, v6, 12, v0
	v_cmp_gt_i32_e32 vcc, 1, v6
	v_cndmask_b32_e32 v4, v5, v4, vcc
	v_and_b32_e32 v5, 7, v4
	v_cmp_lt_i32_e32 vcc, 5, v5
	v_cmp_eq_u32_e64 s[0:1], 3, v5
	v_lshrrev_b32_e32 v8, 2, v4
	v_cvt_f64_f32_e32 v[4:5], v7
	s_or_b64 vcc, s[0:1], vcc
	v_addc_co_u32_e32 v7, vcc, 0, v8, vcc
	v_mul_f64 v[4:5], v[4:5], s[2:3]
	v_cmp_gt_i32_e32 vcc, 31, v6
	v_cndmask_b32_e32 v7, v14, v7, vcc
	v_cmp_ne_u32_e32 vcc, 0, v0
	v_cndmask_b32_e64 v0, 0, 1, vcc
	v_lshl_or_b32 v0, v0, 9, v14
	v_cmp_eq_u32_e32 vcc, s10, v6
	v_cndmask_b32_e32 v0, v7, v0, vcc
	v_lshrrev_b32_e32 v1, 16, v1
	v_and_or_b32 v6, v1, s14, v0
	v_and_or_b32 v0, v5, s6, v4
	v_cmp_ne_u32_e32 vcc, 0, v0
	v_cndmask_b32_e64 v0, 0, 1, vcc
	v_lshrrev_b32_e32 v1, 8, v5
	v_bfe_u32 v4, v5, 20, 11
	v_and_or_b32 v0, v1, s7, v0
	v_sub_u32_e32 v7, 0x3f1, v4
	v_or_b32_e32 v1, 0x1000, v0
	v_med3_i32 v7, v7, 0, 13
	v_lshrrev_b32_e32 v8, v7, v1
	v_lshlrev_b32_e32 v7, v7, v8
	v_cmp_ne_u32_e32 vcc, v7, v1
	v_cndmask_b32_e64 v1, 0, 1, vcc
	v_add_u32_e32 v4, 0xfffffc10, v4
	v_or_b32_e32 v1, v8, v1
	v_lshl_or_b32 v7, v4, 12, v0
	v_cmp_gt_i32_e32 vcc, 1, v4
	v_cndmask_b32_e32 v1, v7, v1, vcc
	v_and_b32_e32 v7, 7, v1
	v_cmp_lt_i32_e32 vcc, 5, v7
	v_cmp_eq_u32_e64 s[0:1], 3, v7
	v_lshrrev_b32_e32 v7, 16, v11
	v_lshrrev_b32_e32 v1, 2, v1
	s_or_b64 vcc, s[0:1], vcc
	v_mul_f16_sdwa v8, v90, v7 dst_sel:DWORD dst_unused:UNUSED_PAD src0_sel:WORD_1 src1_sel:DWORD
	v_addc_co_u32_e32 v1, vcc, 0, v1, vcc
	v_fma_f16 v8, v90, v11, v8
	v_cmp_gt_i32_e32 vcc, 31, v4
	v_cvt_f32_f16_e32 v8, v8
	v_cndmask_b32_e32 v1, v14, v1, vcc
	v_cmp_ne_u32_e32 vcc, 0, v0
	v_cndmask_b32_e64 v0, 0, 1, vcc
	v_lshl_or_b32 v0, v0, 9, v14
	v_cmp_eq_u32_e32 vcc, s10, v4
	v_cndmask_b32_e32 v4, v1, v0, vcc
	v_cvt_f64_f32_e32 v[0:1], v8
	v_lshrrev_b32_e32 v5, 16, v5
	v_and_or_b32 v4, v5, s14, v4
	v_and_b32_e32 v5, 0xffff, v6
	v_mul_f64 v[0:1], v[0:1], s[2:3]
	v_lshl_or_b32 v4, v4, 16, v5
	v_mov_b32_e32 v5, s4
	v_add_co_u32_e32 v2, vcc, s5, v2
	v_addc_co_u32_e32 v3, vcc, v3, v5, vcc
	global_store_dword v[2:3], v4, off
	v_and_or_b32 v0, v1, s6, v0
	v_cmp_ne_u32_e32 vcc, 0, v0
	v_cndmask_b32_e64 v0, 0, 1, vcc
	v_lshrrev_b32_e32 v4, 8, v1
	v_bfe_u32 v5, v1, 20, 11
	v_and_or_b32 v0, v4, s7, v0
	v_sub_u32_e32 v6, 0x3f1, v5
	v_or_b32_e32 v4, 0x1000, v0
	v_med3_i32 v6, v6, 0, 13
	v_lshrrev_b32_e32 v8, v6, v4
	v_lshlrev_b32_e32 v6, v6, v8
	v_cmp_ne_u32_e32 vcc, v6, v4
	v_cndmask_b32_e64 v4, 0, 1, vcc
	v_or_b32_e32 v4, v8, v4
	v_mul_f16_sdwa v8, v90, v11 dst_sel:DWORD dst_unused:UNUSED_PAD src0_sel:WORD_1 src1_sel:DWORD
	v_fma_f16 v7, v90, v7, -v8
	v_add_u32_e32 v6, 0xfffffc10, v5
	v_cvt_f32_f16_e32 v7, v7
	v_lshl_or_b32 v5, v6, 12, v0
	v_cmp_gt_i32_e32 vcc, 1, v6
	v_cndmask_b32_e32 v4, v5, v4, vcc
	v_and_b32_e32 v5, 7, v4
	v_cmp_lt_i32_e32 vcc, 5, v5
	v_cmp_eq_u32_e64 s[0:1], 3, v5
	v_lshrrev_b32_e32 v8, 2, v4
	v_cvt_f64_f32_e32 v[4:5], v7
	s_or_b64 vcc, s[0:1], vcc
	v_addc_co_u32_e32 v7, vcc, 0, v8, vcc
	v_mul_f64 v[4:5], v[4:5], s[2:3]
	v_cmp_gt_i32_e32 vcc, 31, v6
	v_cndmask_b32_e32 v7, v14, v7, vcc
	v_cmp_ne_u32_e32 vcc, 0, v0
	v_cndmask_b32_e64 v0, 0, 1, vcc
	v_lshl_or_b32 v0, v0, 9, v14
	v_cmp_eq_u32_e32 vcc, s10, v6
	v_cndmask_b32_e32 v0, v7, v0, vcc
	v_lshrrev_b32_e32 v1, 16, v1
	v_and_or_b32 v6, v1, s14, v0
	v_and_or_b32 v0, v5, s6, v4
	v_cmp_ne_u32_e32 vcc, 0, v0
	v_cndmask_b32_e64 v0, 0, 1, vcc
	v_lshrrev_b32_e32 v1, 8, v5
	v_bfe_u32 v4, v5, 20, 11
	v_and_or_b32 v0, v1, s7, v0
	v_sub_u32_e32 v7, 0x3f1, v4
	v_or_b32_e32 v1, 0x1000, v0
	v_med3_i32 v7, v7, 0, 13
	v_lshrrev_b32_e32 v8, v7, v1
	v_lshlrev_b32_e32 v7, v7, v8
	v_cmp_ne_u32_e32 vcc, v7, v1
	v_cndmask_b32_e64 v1, 0, 1, vcc
	v_add_u32_e32 v4, 0xfffffc10, v4
	v_or_b32_e32 v1, v8, v1
	v_lshl_or_b32 v7, v4, 12, v0
	v_cmp_gt_i32_e32 vcc, 1, v4
	v_cndmask_b32_e32 v1, v7, v1, vcc
	v_and_b32_e32 v7, 7, v1
	v_cmp_lt_i32_e32 vcc, 5, v7
	v_cmp_eq_u32_e64 s[0:1], 3, v7
	v_lshrrev_b32_e32 v7, 16, v13
	v_lshrrev_b32_e32 v1, 2, v1
	s_or_b64 vcc, s[0:1], vcc
	v_mul_f16_sdwa v8, v92, v7 dst_sel:DWORD dst_unused:UNUSED_PAD src0_sel:WORD_1 src1_sel:DWORD
	v_addc_co_u32_e32 v1, vcc, 0, v1, vcc
	v_fma_f16 v8, v92, v13, v8
	v_cmp_gt_i32_e32 vcc, 31, v4
	v_cvt_f32_f16_e32 v8, v8
	v_cndmask_b32_e32 v1, v14, v1, vcc
	v_cmp_ne_u32_e32 vcc, 0, v0
	v_cndmask_b32_e64 v0, 0, 1, vcc
	v_lshl_or_b32 v0, v0, 9, v14
	v_cmp_eq_u32_e32 vcc, s10, v4
	v_cndmask_b32_e32 v4, v1, v0, vcc
	v_cvt_f64_f32_e32 v[0:1], v8
	v_lshrrev_b32_e32 v5, 16, v5
	v_and_or_b32 v4, v5, s14, v4
	v_and_b32_e32 v5, 0xffff, v6
	v_mul_f64 v[0:1], v[0:1], s[2:3]
	v_lshl_or_b32 v4, v4, 16, v5
	v_mov_b32_e32 v5, s4
	v_add_co_u32_e32 v2, vcc, s5, v2
	v_addc_co_u32_e32 v3, vcc, v3, v5, vcc
	global_store_dword v[2:3], v4, off
	v_and_or_b32 v0, v1, s6, v0
	v_cmp_ne_u32_e32 vcc, 0, v0
	v_cndmask_b32_e64 v0, 0, 1, vcc
	v_lshrrev_b32_e32 v4, 8, v1
	v_bfe_u32 v5, v1, 20, 11
	v_and_or_b32 v0, v4, s7, v0
	v_sub_u32_e32 v6, 0x3f1, v5
	v_or_b32_e32 v4, 0x1000, v0
	v_med3_i32 v6, v6, 0, 13
	v_lshrrev_b32_e32 v8, v6, v4
	v_lshlrev_b32_e32 v6, v6, v8
	v_cmp_ne_u32_e32 vcc, v6, v4
	v_cndmask_b32_e64 v4, 0, 1, vcc
	v_or_b32_e32 v4, v8, v4
	v_mul_f16_sdwa v8, v92, v13 dst_sel:DWORD dst_unused:UNUSED_PAD src0_sel:WORD_1 src1_sel:DWORD
	v_fma_f16 v7, v92, v7, -v8
	v_add_u32_e32 v6, 0xfffffc10, v5
	v_cvt_f32_f16_e32 v7, v7
	v_lshl_or_b32 v5, v6, 12, v0
	v_cmp_gt_i32_e32 vcc, 1, v6
	v_cndmask_b32_e32 v4, v5, v4, vcc
	v_and_b32_e32 v5, 7, v4
	v_cmp_lt_i32_e32 vcc, 5, v5
	v_cmp_eq_u32_e64 s[0:1], 3, v5
	v_lshrrev_b32_e32 v8, 2, v4
	v_cvt_f64_f32_e32 v[4:5], v7
	s_or_b64 vcc, s[0:1], vcc
	v_addc_co_u32_e32 v7, vcc, 0, v8, vcc
	v_mul_f64 v[4:5], v[4:5], s[2:3]
	v_cmp_gt_i32_e32 vcc, 31, v6
	v_cndmask_b32_e32 v7, v14, v7, vcc
	v_cmp_ne_u32_e32 vcc, 0, v0
	v_cndmask_b32_e64 v0, 0, 1, vcc
	v_lshl_or_b32 v0, v0, 9, v14
	v_cmp_eq_u32_e32 vcc, s10, v6
	v_cndmask_b32_e32 v0, v7, v0, vcc
	v_lshrrev_b32_e32 v1, 16, v1
	v_and_or_b32 v0, v1, s14, v0
	v_and_or_b32 v1, v5, s6, v4
	v_cmp_ne_u32_e32 vcc, 0, v1
	v_cndmask_b32_e64 v1, 0, 1, vcc
	v_lshrrev_b32_e32 v4, 8, v5
	v_bfe_u32 v6, v5, 20, 11
	v_and_or_b32 v1, v4, s7, v1
	v_sub_u32_e32 v7, 0x3f1, v6
	v_or_b32_e32 v4, 0x1000, v1
	v_med3_i32 v7, v7, 0, 13
	v_lshrrev_b32_e32 v8, v7, v4
	v_lshlrev_b32_e32 v7, v7, v8
	v_cmp_ne_u32_e32 vcc, v7, v4
	v_cndmask_b32_e64 v4, 0, 1, vcc
	v_add_u32_e32 v6, 0xfffffc10, v6
	v_or_b32_e32 v4, v8, v4
	v_lshl_or_b32 v7, v6, 12, v1
	v_cmp_gt_i32_e32 vcc, 1, v6
	v_cndmask_b32_e32 v4, v7, v4, vcc
	v_and_b32_e32 v7, 7, v4
	v_cmp_lt_i32_e32 vcc, 5, v7
	v_cmp_eq_u32_e64 s[0:1], 3, v7
	v_lshrrev_b32_e32 v4, 2, v4
	s_or_b64 vcc, s[0:1], vcc
	v_addc_co_u32_e32 v4, vcc, 0, v4, vcc
	v_cmp_gt_i32_e32 vcc, 31, v6
	v_cndmask_b32_e32 v4, v14, v4, vcc
	v_cmp_ne_u32_e32 vcc, 0, v1
	v_cndmask_b32_e64 v1, 0, 1, vcc
	v_lshl_or_b32 v1, v1, 9, v14
	v_cmp_eq_u32_e32 vcc, s10, v6
	v_cndmask_b32_e32 v1, v4, v1, vcc
	v_lshrrev_b32_e32 v4, 16, v5
	v_and_or_b32 v1, v4, s14, v1
	v_and_b32_e32 v0, 0xffff, v0
	v_lshl_or_b32 v4, v1, 16, v0
	v_mov_b32_e32 v1, s4
	v_add_co_u32_e32 v0, vcc, s5, v2
	v_addc_co_u32_e32 v1, vcc, v3, v1, vcc
	global_store_dword v[0:1], v4, off
.LBB0_2:
	s_endpgm
	.section	.rodata,"a",@progbits
	.p2align	6, 0x0
	.amdhsa_kernel bluestein_single_fwd_len5488_dim1_half_op_CI_CI
		.amdhsa_group_segment_fixed_size 21952
		.amdhsa_private_segment_fixed_size 0
		.amdhsa_kernarg_size 104
		.amdhsa_user_sgpr_count 6
		.amdhsa_user_sgpr_private_segment_buffer 1
		.amdhsa_user_sgpr_dispatch_ptr 0
		.amdhsa_user_sgpr_queue_ptr 0
		.amdhsa_user_sgpr_kernarg_segment_ptr 1
		.amdhsa_user_sgpr_dispatch_id 0
		.amdhsa_user_sgpr_flat_scratch_init 0
		.amdhsa_user_sgpr_private_segment_size 0
		.amdhsa_uses_dynamic_stack 0
		.amdhsa_system_sgpr_private_segment_wavefront_offset 0
		.amdhsa_system_sgpr_workgroup_id_x 1
		.amdhsa_system_sgpr_workgroup_id_y 0
		.amdhsa_system_sgpr_workgroup_id_z 0
		.amdhsa_system_sgpr_workgroup_info 0
		.amdhsa_system_vgpr_workitem_id 0
		.amdhsa_next_free_vgpr 227
		.amdhsa_next_free_sgpr 20
		.amdhsa_reserve_vcc 1
		.amdhsa_reserve_flat_scratch 0
		.amdhsa_float_round_mode_32 0
		.amdhsa_float_round_mode_16_64 0
		.amdhsa_float_denorm_mode_32 3
		.amdhsa_float_denorm_mode_16_64 3
		.amdhsa_dx10_clamp 1
		.amdhsa_ieee_mode 1
		.amdhsa_fp16_overflow 0
		.amdhsa_exception_fp_ieee_invalid_op 0
		.amdhsa_exception_fp_denorm_src 0
		.amdhsa_exception_fp_ieee_div_zero 0
		.amdhsa_exception_fp_ieee_overflow 0
		.amdhsa_exception_fp_ieee_underflow 0
		.amdhsa_exception_fp_ieee_inexact 0
		.amdhsa_exception_int_div_zero 0
	.end_amdhsa_kernel
	.text
.Lfunc_end0:
	.size	bluestein_single_fwd_len5488_dim1_half_op_CI_CI, .Lfunc_end0-bluestein_single_fwd_len5488_dim1_half_op_CI_CI
                                        ; -- End function
	.section	.AMDGPU.csdata,"",@progbits
; Kernel info:
; codeLenInByte = 44956
; NumSgprs: 24
; NumVgprs: 227
; ScratchSize: 0
; MemoryBound: 0
; FloatMode: 240
; IeeeMode: 1
; LDSByteSize: 21952 bytes/workgroup (compile time only)
; SGPRBlocks: 2
; VGPRBlocks: 56
; NumSGPRsForWavesPerEU: 24
; NumVGPRsForWavesPerEU: 227
; Occupancy: 1
; WaveLimiterHint : 1
; COMPUTE_PGM_RSRC2:SCRATCH_EN: 0
; COMPUTE_PGM_RSRC2:USER_SGPR: 6
; COMPUTE_PGM_RSRC2:TRAP_HANDLER: 0
; COMPUTE_PGM_RSRC2:TGID_X_EN: 1
; COMPUTE_PGM_RSRC2:TGID_Y_EN: 0
; COMPUTE_PGM_RSRC2:TGID_Z_EN: 0
; COMPUTE_PGM_RSRC2:TIDIG_COMP_CNT: 0
	.type	__hip_cuid_ab06773612e12143,@object ; @__hip_cuid_ab06773612e12143
	.section	.bss,"aw",@nobits
	.globl	__hip_cuid_ab06773612e12143
__hip_cuid_ab06773612e12143:
	.byte	0                               ; 0x0
	.size	__hip_cuid_ab06773612e12143, 1

	.ident	"AMD clang version 19.0.0git (https://github.com/RadeonOpenCompute/llvm-project roc-6.4.0 25133 c7fe45cf4b819c5991fe208aaa96edf142730f1d)"
	.section	".note.GNU-stack","",@progbits
	.addrsig
	.addrsig_sym __hip_cuid_ab06773612e12143
	.amdgpu_metadata
---
amdhsa.kernels:
  - .args:
      - .actual_access:  read_only
        .address_space:  global
        .offset:         0
        .size:           8
        .value_kind:     global_buffer
      - .actual_access:  read_only
        .address_space:  global
        .offset:         8
        .size:           8
        .value_kind:     global_buffer
      - .actual_access:  read_only
        .address_space:  global
        .offset:         16
        .size:           8
        .value_kind:     global_buffer
      - .actual_access:  read_only
        .address_space:  global
        .offset:         24
        .size:           8
        .value_kind:     global_buffer
      - .actual_access:  read_only
        .address_space:  global
        .offset:         32
        .size:           8
        .value_kind:     global_buffer
      - .offset:         40
        .size:           8
        .value_kind:     by_value
      - .address_space:  global
        .offset:         48
        .size:           8
        .value_kind:     global_buffer
      - .address_space:  global
        .offset:         56
        .size:           8
        .value_kind:     global_buffer
      - .address_space:  global
        .offset:         64
        .size:           8
        .value_kind:     global_buffer
      - .address_space:  global
        .offset:         72
        .size:           8
        .value_kind:     global_buffer
      - .offset:         80
        .size:           4
        .value_kind:     by_value
      - .address_space:  global
        .offset:         88
        .size:           8
        .value_kind:     global_buffer
      - .address_space:  global
        .offset:         96
        .size:           8
        .value_kind:     global_buffer
    .group_segment_fixed_size: 21952
    .kernarg_segment_align: 8
    .kernarg_segment_size: 104
    .language:       OpenCL C
    .language_version:
      - 2
      - 0
    .max_flat_workgroup_size: 196
    .name:           bluestein_single_fwd_len5488_dim1_half_op_CI_CI
    .private_segment_fixed_size: 0
    .sgpr_count:     24
    .sgpr_spill_count: 0
    .symbol:         bluestein_single_fwd_len5488_dim1_half_op_CI_CI.kd
    .uniform_work_group_size: 1
    .uses_dynamic_stack: false
    .vgpr_count:     227
    .vgpr_spill_count: 0
    .wavefront_size: 64
amdhsa.target:   amdgcn-amd-amdhsa--gfx906
amdhsa.version:
  - 1
  - 2
...

	.end_amdgpu_metadata
